;; amdgpu-corpus repo=ROCm/rocFFT kind=compiled arch=gfx1201 opt=O3
	.text
	.amdgcn_target "amdgcn-amd-amdhsa--gfx1201"
	.amdhsa_code_object_version 6
	.protected	fft_rtc_fwd_len3456_factors_6_6_6_4_4_wgs_144_tpt_144_halfLds_half_op_CI_CI_sbrr_dirReg ; -- Begin function fft_rtc_fwd_len3456_factors_6_6_6_4_4_wgs_144_tpt_144_halfLds_half_op_CI_CI_sbrr_dirReg
	.globl	fft_rtc_fwd_len3456_factors_6_6_6_4_4_wgs_144_tpt_144_halfLds_half_op_CI_CI_sbrr_dirReg
	.p2align	8
	.type	fft_rtc_fwd_len3456_factors_6_6_6_4_4_wgs_144_tpt_144_halfLds_half_op_CI_CI_sbrr_dirReg,@function
fft_rtc_fwd_len3456_factors_6_6_6_4_4_wgs_144_tpt_144_halfLds_half_op_CI_CI_sbrr_dirReg: ; @fft_rtc_fwd_len3456_factors_6_6_6_4_4_wgs_144_tpt_144_halfLds_half_op_CI_CI_sbrr_dirReg
; %bb.0:
	s_clause 0x2
	s_load_b128 s[12:15], s[0:1], 0x18
	s_load_b128 s[8:11], s[0:1], 0x0
	;; [unrolled: 1-line block ×3, first 2 shown]
	v_mul_u32_u24_e32 v1, 0x1c8, v0
	v_mov_b32_e32 v3, 0
	s_wait_kmcnt 0x0
	s_load_b64 s[18:19], s[12:13], 0x0
	s_load_b64 s[16:17], s[14:15], 0x0
	v_lshrrev_b32_e32 v1, 16, v1
	v_cmp_lt_u64_e64 s2, s[10:11], 2
	s_delay_alu instid0(VALU_DEP_2)
	v_add_nc_u32_e32 v5, ttmp9, v1
	v_mov_b32_e32 v1, 0
	v_mov_b32_e32 v2, 0
	;; [unrolled: 1-line block ×3, first 2 shown]
	s_and_b32 vcc_lo, exec_lo, s2
	s_cbranch_vccnz .LBB0_8
; %bb.1:
	s_load_b64 s[2:3], s[0:1], 0x10
	v_mov_b32_e32 v1, 0
	v_mov_b32_e32 v2, 0
	s_add_nc_u64 s[20:21], s[14:15], 8
	s_add_nc_u64 s[22:23], s[12:13], 8
	s_mov_b64 s[24:25], 1
	s_delay_alu instid0(VALU_DEP_1)
	v_dual_mov_b32 v19, v2 :: v_dual_mov_b32 v18, v1
	s_wait_kmcnt 0x0
	s_add_nc_u64 s[26:27], s[2:3], 8
	s_mov_b32 s3, 0
.LBB0_2:                                ; =>This Inner Loop Header: Depth=1
	s_load_b64 s[28:29], s[26:27], 0x0
                                        ; implicit-def: $vgpr20_vgpr21
	s_mov_b32 s2, exec_lo
	s_wait_kmcnt 0x0
	v_or_b32_e32 v4, s29, v6
	s_delay_alu instid0(VALU_DEP_1)
	v_cmpx_ne_u64_e32 0, v[3:4]
	s_wait_alu 0xfffe
	s_xor_b32 s30, exec_lo, s2
	s_cbranch_execz .LBB0_4
; %bb.3:                                ;   in Loop: Header=BB0_2 Depth=1
	s_cvt_f32_u32 s2, s28
	s_cvt_f32_u32 s31, s29
	s_sub_nc_u64 s[36:37], 0, s[28:29]
	s_wait_alu 0xfffe
	s_delay_alu instid0(SALU_CYCLE_1) | instskip(SKIP_1) | instid1(SALU_CYCLE_2)
	s_fmamk_f32 s2, s31, 0x4f800000, s2
	s_wait_alu 0xfffe
	v_s_rcp_f32 s2, s2
	s_delay_alu instid0(TRANS32_DEP_1) | instskip(SKIP_1) | instid1(SALU_CYCLE_2)
	s_mul_f32 s2, s2, 0x5f7ffffc
	s_wait_alu 0xfffe
	s_mul_f32 s31, s2, 0x2f800000
	s_wait_alu 0xfffe
	s_delay_alu instid0(SALU_CYCLE_2) | instskip(SKIP_1) | instid1(SALU_CYCLE_2)
	s_trunc_f32 s31, s31
	s_wait_alu 0xfffe
	s_fmamk_f32 s2, s31, 0xcf800000, s2
	s_cvt_u32_f32 s35, s31
	s_wait_alu 0xfffe
	s_delay_alu instid0(SALU_CYCLE_1) | instskip(SKIP_1) | instid1(SALU_CYCLE_2)
	s_cvt_u32_f32 s34, s2
	s_wait_alu 0xfffe
	s_mul_u64 s[38:39], s[36:37], s[34:35]
	s_wait_alu 0xfffe
	s_mul_hi_u32 s41, s34, s39
	s_mul_i32 s40, s34, s39
	s_mul_hi_u32 s2, s34, s38
	s_mul_i32 s33, s35, s38
	s_wait_alu 0xfffe
	s_add_nc_u64 s[40:41], s[2:3], s[40:41]
	s_mul_hi_u32 s31, s35, s38
	s_mul_hi_u32 s42, s35, s39
	s_add_co_u32 s2, s40, s33
	s_wait_alu 0xfffe
	s_add_co_ci_u32 s2, s41, s31
	s_mul_i32 s38, s35, s39
	s_add_co_ci_u32 s39, s42, 0
	s_wait_alu 0xfffe
	s_add_nc_u64 s[38:39], s[2:3], s[38:39]
	s_wait_alu 0xfffe
	v_add_co_u32 v4, s2, s34, s38
	s_delay_alu instid0(VALU_DEP_1) | instskip(SKIP_1) | instid1(VALU_DEP_1)
	s_cmp_lg_u32 s2, 0
	s_add_co_ci_u32 s35, s35, s39
	v_readfirstlane_b32 s34, v4
	s_wait_alu 0xfffe
	s_delay_alu instid0(VALU_DEP_1)
	s_mul_u64 s[36:37], s[36:37], s[34:35]
	s_wait_alu 0xfffe
	s_mul_hi_u32 s39, s34, s37
	s_mul_i32 s38, s34, s37
	s_mul_hi_u32 s2, s34, s36
	s_mul_i32 s33, s35, s36
	s_wait_alu 0xfffe
	s_add_nc_u64 s[38:39], s[2:3], s[38:39]
	s_mul_hi_u32 s31, s35, s36
	s_mul_hi_u32 s34, s35, s37
	s_wait_alu 0xfffe
	s_add_co_u32 s2, s38, s33
	s_add_co_ci_u32 s2, s39, s31
	s_mul_i32 s36, s35, s37
	s_add_co_ci_u32 s37, s34, 0
	s_wait_alu 0xfffe
	s_add_nc_u64 s[36:37], s[2:3], s[36:37]
	s_wait_alu 0xfffe
	v_add_co_u32 v4, s2, v4, s36
	s_delay_alu instid0(VALU_DEP_1) | instskip(SKIP_1) | instid1(VALU_DEP_1)
	s_cmp_lg_u32 s2, 0
	s_add_co_ci_u32 s2, s35, s37
	v_mul_hi_u32 v13, v5, v4
	s_wait_alu 0xfffe
	v_mad_co_u64_u32 v[7:8], null, v5, s2, 0
	v_mad_co_u64_u32 v[9:10], null, v6, v4, 0
	;; [unrolled: 1-line block ×3, first 2 shown]
	s_delay_alu instid0(VALU_DEP_3) | instskip(SKIP_1) | instid1(VALU_DEP_4)
	v_add_co_u32 v4, vcc_lo, v13, v7
	s_wait_alu 0xfffd
	v_add_co_ci_u32_e32 v7, vcc_lo, 0, v8, vcc_lo
	s_delay_alu instid0(VALU_DEP_2) | instskip(SKIP_1) | instid1(VALU_DEP_2)
	v_add_co_u32 v4, vcc_lo, v4, v9
	s_wait_alu 0xfffd
	v_add_co_ci_u32_e32 v4, vcc_lo, v7, v10, vcc_lo
	s_wait_alu 0xfffd
	v_add_co_ci_u32_e32 v7, vcc_lo, 0, v12, vcc_lo
	s_delay_alu instid0(VALU_DEP_2) | instskip(SKIP_1) | instid1(VALU_DEP_2)
	v_add_co_u32 v4, vcc_lo, v4, v11
	s_wait_alu 0xfffd
	v_add_co_ci_u32_e32 v9, vcc_lo, 0, v7, vcc_lo
	s_delay_alu instid0(VALU_DEP_2) | instskip(SKIP_1) | instid1(VALU_DEP_3)
	v_mul_lo_u32 v10, s29, v4
	v_mad_co_u64_u32 v[7:8], null, s28, v4, 0
	v_mul_lo_u32 v11, s28, v9
	s_delay_alu instid0(VALU_DEP_2) | instskip(NEXT) | instid1(VALU_DEP_2)
	v_sub_co_u32 v7, vcc_lo, v5, v7
	v_add3_u32 v8, v8, v11, v10
	s_delay_alu instid0(VALU_DEP_1) | instskip(SKIP_1) | instid1(VALU_DEP_1)
	v_sub_nc_u32_e32 v10, v6, v8
	s_wait_alu 0xfffd
	v_subrev_co_ci_u32_e64 v10, s2, s29, v10, vcc_lo
	v_add_co_u32 v11, s2, v4, 2
	s_wait_alu 0xf1ff
	v_add_co_ci_u32_e64 v12, s2, 0, v9, s2
	v_sub_co_u32 v13, s2, v7, s28
	v_sub_co_ci_u32_e32 v8, vcc_lo, v6, v8, vcc_lo
	s_wait_alu 0xf1ff
	v_subrev_co_ci_u32_e64 v10, s2, 0, v10, s2
	s_delay_alu instid0(VALU_DEP_3) | instskip(NEXT) | instid1(VALU_DEP_3)
	v_cmp_le_u32_e32 vcc_lo, s28, v13
	v_cmp_eq_u32_e64 s2, s29, v8
	s_wait_alu 0xfffd
	v_cndmask_b32_e64 v13, 0, -1, vcc_lo
	v_cmp_le_u32_e32 vcc_lo, s29, v10
	s_wait_alu 0xfffd
	v_cndmask_b32_e64 v14, 0, -1, vcc_lo
	v_cmp_le_u32_e32 vcc_lo, s28, v7
	;; [unrolled: 3-line block ×3, first 2 shown]
	s_wait_alu 0xfffd
	v_cndmask_b32_e64 v15, 0, -1, vcc_lo
	v_cmp_eq_u32_e32 vcc_lo, s29, v10
	s_wait_alu 0xf1ff
	s_delay_alu instid0(VALU_DEP_2)
	v_cndmask_b32_e64 v7, v15, v7, s2
	s_wait_alu 0xfffd
	v_cndmask_b32_e32 v10, v14, v13, vcc_lo
	v_add_co_u32 v13, vcc_lo, v4, 1
	s_wait_alu 0xfffd
	v_add_co_ci_u32_e32 v14, vcc_lo, 0, v9, vcc_lo
	s_delay_alu instid0(VALU_DEP_3) | instskip(SKIP_1) | instid1(VALU_DEP_2)
	v_cmp_ne_u32_e32 vcc_lo, 0, v10
	s_wait_alu 0xfffd
	v_cndmask_b32_e32 v8, v14, v12, vcc_lo
	v_cndmask_b32_e32 v10, v13, v11, vcc_lo
	v_cmp_ne_u32_e32 vcc_lo, 0, v7
	s_wait_alu 0xfffd
	s_delay_alu instid0(VALU_DEP_2)
	v_dual_cndmask_b32 v21, v9, v8 :: v_dual_cndmask_b32 v20, v4, v10
.LBB0_4:                                ;   in Loop: Header=BB0_2 Depth=1
	s_wait_alu 0xfffe
	s_and_not1_saveexec_b32 s2, s30
	s_cbranch_execz .LBB0_6
; %bb.5:                                ;   in Loop: Header=BB0_2 Depth=1
	v_cvt_f32_u32_e32 v4, s28
	s_sub_co_i32 s30, 0, s28
	v_mov_b32_e32 v21, v3
	s_delay_alu instid0(VALU_DEP_2) | instskip(NEXT) | instid1(TRANS32_DEP_1)
	v_rcp_iflag_f32_e32 v4, v4
	v_mul_f32_e32 v4, 0x4f7ffffe, v4
	s_delay_alu instid0(VALU_DEP_1) | instskip(SKIP_1) | instid1(VALU_DEP_1)
	v_cvt_u32_f32_e32 v4, v4
	s_wait_alu 0xfffe
	v_mul_lo_u32 v7, s30, v4
	s_delay_alu instid0(VALU_DEP_1) | instskip(NEXT) | instid1(VALU_DEP_1)
	v_mul_hi_u32 v7, v4, v7
	v_add_nc_u32_e32 v4, v4, v7
	s_delay_alu instid0(VALU_DEP_1) | instskip(NEXT) | instid1(VALU_DEP_1)
	v_mul_hi_u32 v4, v5, v4
	v_mul_lo_u32 v7, v4, s28
	v_add_nc_u32_e32 v8, 1, v4
	s_delay_alu instid0(VALU_DEP_2) | instskip(NEXT) | instid1(VALU_DEP_1)
	v_sub_nc_u32_e32 v7, v5, v7
	v_subrev_nc_u32_e32 v9, s28, v7
	v_cmp_le_u32_e32 vcc_lo, s28, v7
	s_wait_alu 0xfffd
	s_delay_alu instid0(VALU_DEP_2) | instskip(NEXT) | instid1(VALU_DEP_1)
	v_dual_cndmask_b32 v7, v7, v9 :: v_dual_cndmask_b32 v4, v4, v8
	v_cmp_le_u32_e32 vcc_lo, s28, v7
	s_delay_alu instid0(VALU_DEP_2) | instskip(SKIP_1) | instid1(VALU_DEP_1)
	v_add_nc_u32_e32 v8, 1, v4
	s_wait_alu 0xfffd
	v_cndmask_b32_e32 v20, v4, v8, vcc_lo
.LBB0_6:                                ;   in Loop: Header=BB0_2 Depth=1
	s_wait_alu 0xfffe
	s_or_b32 exec_lo, exec_lo, s2
	v_mul_lo_u32 v4, v21, s28
	s_delay_alu instid0(VALU_DEP_2)
	v_mul_lo_u32 v9, v20, s29
	s_load_b64 s[30:31], s[22:23], 0x0
	v_mad_co_u64_u32 v[7:8], null, v20, s28, 0
	s_load_b64 s[28:29], s[20:21], 0x0
	s_add_nc_u64 s[24:25], s[24:25], 1
	s_add_nc_u64 s[20:21], s[20:21], 8
	s_wait_alu 0xfffe
	v_cmp_ge_u64_e64 s2, s[24:25], s[10:11]
	s_add_nc_u64 s[22:23], s[22:23], 8
	s_add_nc_u64 s[26:27], s[26:27], 8
	v_add3_u32 v4, v8, v9, v4
	v_sub_co_u32 v5, vcc_lo, v5, v7
	s_wait_alu 0xfffd
	s_delay_alu instid0(VALU_DEP_2) | instskip(SKIP_2) | instid1(VALU_DEP_1)
	v_sub_co_ci_u32_e32 v4, vcc_lo, v6, v4, vcc_lo
	s_and_b32 vcc_lo, exec_lo, s2
	s_wait_kmcnt 0x0
	v_mul_lo_u32 v6, s30, v4
	v_mul_lo_u32 v7, s31, v5
	v_mad_co_u64_u32 v[1:2], null, s30, v5, v[1:2]
	v_mul_lo_u32 v4, s28, v4
	v_mul_lo_u32 v8, s29, v5
	v_mad_co_u64_u32 v[18:19], null, s28, v5, v[18:19]
	s_delay_alu instid0(VALU_DEP_4) | instskip(NEXT) | instid1(VALU_DEP_2)
	v_add3_u32 v2, v7, v2, v6
	v_add3_u32 v19, v8, v19, v4
	s_wait_alu 0xfffe
	s_cbranch_vccnz .LBB0_9
; %bb.7:                                ;   in Loop: Header=BB0_2 Depth=1
	v_dual_mov_b32 v5, v20 :: v_dual_mov_b32 v6, v21
	s_branch .LBB0_2
.LBB0_8:
	s_delay_alu instid0(VALU_DEP_2) | instskip(NEXT) | instid1(VALU_DEP_2)
	v_dual_mov_b32 v19, v2 :: v_dual_mov_b32 v18, v1
	v_dual_mov_b32 v21, v6 :: v_dual_mov_b32 v20, v5
.LBB0_9:
	s_load_b64 s[0:1], s[0:1], 0x28
	v_mul_hi_u32 v61, 0x1c71c72, v0
	s_lshl_b64 s[10:11], s[10:11], 3
                                        ; implicit-def: $vgpr22
                                        ; implicit-def: $vgpr23
                                        ; implicit-def: $vgpr24
                                        ; implicit-def: $vgpr25
                                        ; implicit-def: $vgpr3
                                        ; implicit-def: $vgpr4
	s_wait_kmcnt 0x0
	v_cmp_gt_u64_e32 vcc_lo, s[0:1], v[20:21]
	v_cmp_le_u64_e64 s0, s[0:1], v[20:21]
	s_delay_alu instid0(VALU_DEP_1)
	s_and_saveexec_b32 s1, s0
	s_wait_alu 0xfffe
	s_xor_b32 s0, exec_lo, s1
; %bb.10:
	v_mul_u32_u24_e32 v1, 0x90, v61
                                        ; implicit-def: $vgpr61
	s_delay_alu instid0(VALU_DEP_1) | instskip(NEXT) | instid1(VALU_DEP_1)
	v_sub_nc_u32_e32 v22, v0, v1
                                        ; implicit-def: $vgpr0
                                        ; implicit-def: $vgpr1_vgpr2
	v_add_nc_u32_e32 v23, 0x90, v22
	v_add_nc_u32_e32 v24, 0x120, v22
	;; [unrolled: 1-line block ×5, first 2 shown]
; %bb.11:
	s_wait_alu 0xfffe
	s_or_saveexec_b32 s1, s0
	s_add_nc_u64 s[2:3], s[14:15], s[10:11]
                                        ; implicit-def: $vgpr53
                                        ; implicit-def: $vgpr7
                                        ; implicit-def: $vgpr56
                                        ; implicit-def: $vgpr8
                                        ; implicit-def: $vgpr60
                                        ; implicit-def: $vgpr14
                                        ; implicit-def: $vgpr58
                                        ; implicit-def: $vgpr11
                                        ; implicit-def: $vgpr59
                                        ; implicit-def: $vgpr16
                                        ; implicit-def: $vgpr57
                                        ; implicit-def: $vgpr12
                                        ; implicit-def: $vgpr47
                                        ; implicit-def: $vgpr5
                                        ; implicit-def: $vgpr50
                                        ; implicit-def: $vgpr6
                                        ; implicit-def: $vgpr55
                                        ; implicit-def: $vgpr38
                                        ; implicit-def: $vgpr52
                                        ; implicit-def: $vgpr32
                                        ; implicit-def: $vgpr54
                                        ; implicit-def: $vgpr40
                                        ; implicit-def: $vgpr51
                                        ; implicit-def: $vgpr33
                                        ; implicit-def: $vgpr37
                                        ; implicit-def: $vgpr9
                                        ; implicit-def: $vgpr42
                                        ; implicit-def: $vgpr10
                                        ; implicit-def: $vgpr49
                                        ; implicit-def: $vgpr27
                                        ; implicit-def: $vgpr45
                                        ; implicit-def: $vgpr15
                                        ; implicit-def: $vgpr48
                                        ; implicit-def: $vgpr46
                                        ; implicit-def: $vgpr44
                                        ; implicit-def: $vgpr43
                                        ; implicit-def: $vgpr17
                                        ; implicit-def: $vgpr13
                                        ; implicit-def: $vgpr28
                                        ; implicit-def: $vgpr26
                                        ; implicit-def: $vgpr41
                                        ; implicit-def: $vgpr34
                                        ; implicit-def: $vgpr35
                                        ; implicit-def: $vgpr29
                                        ; implicit-def: $vgpr39
                                        ; implicit-def: $vgpr36
                                        ; implicit-def: $vgpr31
                                        ; implicit-def: $vgpr30
	s_wait_alu 0xfffe
	s_xor_b32 exec_lo, exec_lo, s1
	s_cbranch_execz .LBB0_13
; %bb.12:
	s_add_nc_u64 s[10:11], s[12:13], s[10:11]
	v_mul_u32_u24_e32 v3, 0x90, v61
	s_load_b64 s[10:11], s[10:11], 0x0
	s_delay_alu instid0(VALU_DEP_1) | instskip(SKIP_1) | instid1(VALU_DEP_2)
	v_sub_nc_u32_e32 v22, v0, v3
	v_lshlrev_b64_e32 v[0:1], 2, v[1:2]
	v_mad_co_u64_u32 v[4:5], null, s18, v22, 0
	v_add_nc_u32_e32 v3, 0x240, v22
	v_or_b32_e32 v25, 0x900, v22
	s_delay_alu instid0(VALU_DEP_3) | instskip(NEXT) | instid1(VALU_DEP_3)
	v_mov_b32_e32 v2, v5
	v_mad_co_u64_u32 v[6:7], null, s18, v3, 0
	v_add_nc_u32_e32 v23, 0x480, v22
	s_wait_kmcnt 0x0
	v_mul_lo_u32 v5, s11, v20
	v_mul_lo_u32 v15, s10, v21
	v_mad_co_u64_u32 v[10:11], null, s10, v20, 0
	v_mad_co_u64_u32 v[12:13], null, s19, v22, v[2:3]
	v_mov_b32_e32 v2, v7
	v_mad_co_u64_u32 v[8:9], null, s18, v23, 0
	v_add_nc_u32_e32 v24, 0x6c0, v22
	v_add3_u32 v11, v11, v15, v5
	s_delay_alu instid0(VALU_DEP_4) | instskip(SKIP_2) | instid1(VALU_DEP_4)
	v_mad_co_u64_u32 v[15:16], null, s19, v3, v[2:3]
	v_mad_co_u64_u32 v[16:17], null, s18, v25, 0
	v_mov_b32_e32 v7, v9
	v_lshlrev_b64_e32 v[9:10], 2, v[10:11]
	v_mad_co_u64_u32 v[13:14], null, s18, v24, 0
	v_mov_b32_e32 v5, v12
	s_delay_alu instid0(VALU_DEP_4) | instskip(NEXT) | instid1(VALU_DEP_4)
	v_mad_co_u64_u32 v[11:12], null, s19, v23, v[7:8]
	v_add_co_u32 v12, s0, s4, v9
	s_wait_alu 0xf1ff
	v_add_co_ci_u32_e64 v10, s0, s5, v10, s0
	v_mov_b32_e32 v2, v14
	v_lshlrev_b64_e32 v[4:5], 2, v[4:5]
	v_mov_b32_e32 v7, v15
	v_add_co_u32 v53, s0, v12, v0
	s_wait_alu 0xf1ff
	v_add_co_ci_u32_e64 v54, s0, v10, v1, s0
	s_delay_alu instid0(VALU_DEP_3) | instskip(NEXT) | instid1(VALU_DEP_3)
	v_lshlrev_b64_e32 v[0:1], 2, v[6:7]
	v_add_co_u32 v6, s0, v53, v4
	s_wait_alu 0xf1ff
	s_delay_alu instid0(VALU_DEP_3)
	v_add_co_ci_u32_e64 v7, s0, v54, v5, s0
	v_mad_co_u64_u32 v[4:5], null, s19, v24, v[2:3]
	v_dual_mov_b32 v2, v17 :: v_dual_mov_b32 v9, v11
	v_add_nc_u32_e32 v15, 0xb40, v22
	v_add_co_u32 v0, s0, v53, v0
	s_wait_alu 0xf1ff
	v_add_co_ci_u32_e64 v1, s0, v54, v1, s0
	v_mov_b32_e32 v14, v4
	v_lshlrev_b64_e32 v[8:9], 2, v[8:9]
	v_mad_co_u64_u32 v[10:11], null, s18, v15, 0
	v_mad_co_u64_u32 v[4:5], null, s19, v25, v[2:3]
	v_add_nc_u32_e32 v23, 0x90, v22
	s_delay_alu instid0(VALU_DEP_4)
	v_add_co_u32 v24, s0, v53, v8
	s_wait_alu 0xf1ff
	v_add_co_ci_u32_e64 v25, s0, v54, v9, s0
	v_lshlrev_b64_e32 v[8:9], 2, v[13:14]
	v_dual_mov_b32 v2, v11 :: v_dual_mov_b32 v17, v4
	v_add_nc_u32_e32 v4, 0x2d0, v22
	v_mad_co_u64_u32 v[12:13], null, s18, v23, 0
	s_delay_alu instid0(VALU_DEP_4) | instskip(NEXT) | instid1(VALU_DEP_4)
	v_add_co_u32 v26, s0, v53, v8
	v_mad_co_u64_u32 v[14:15], null, s19, v15, v[2:3]
	s_wait_alu 0xf1ff
	v_add_co_ci_u32_e64 v27, s0, v54, v9, s0
	v_lshlrev_b64_e32 v[8:9], 2, v[16:17]
	v_mad_co_u64_u32 v[15:16], null, s18, v4, 0
	s_delay_alu instid0(VALU_DEP_4) | instskip(SKIP_1) | instid1(VALU_DEP_4)
	v_dual_mov_b32 v2, v13 :: v_dual_mov_b32 v11, v14
	v_add_nc_u32_e32 v17, 0xbd0, v22
	v_add_co_u32 v28, s0, v53, v8
	s_delay_alu instid0(VALU_DEP_3) | instskip(SKIP_4) | instid1(VALU_DEP_3)
	v_mad_co_u64_u32 v[13:14], null, s19, v23, v[2:3]
	v_mov_b32_e32 v2, v16
	s_wait_alu 0xf1ff
	v_add_co_ci_u32_e64 v29, s0, v54, v9, s0
	v_lshlrev_b64_e32 v[8:9], 2, v[10:11]
	v_mad_co_u64_u32 v[10:11], null, s19, v4, v[2:3]
	v_add_nc_u32_e32 v5, 0x510, v22
	s_delay_alu instid0(VALU_DEP_3) | instskip(SKIP_1) | instid1(VALU_DEP_4)
	v_add_co_u32 v32, s0, v53, v8
	s_wait_alu 0xf1ff
	v_add_co_ci_u32_e64 v33, s0, v54, v9, s0
	s_delay_alu instid0(VALU_DEP_4) | instskip(SKIP_2) | instid1(VALU_DEP_3)
	v_mov_b32_e32 v16, v10
	v_mad_co_u64_u32 v[30:31], null, s18, v5, 0
	v_lshlrev_b64_e32 v[8:9], 2, v[12:13]
	v_lshlrev_b64_e32 v[10:11], 2, v[15:16]
	s_delay_alu instid0(VALU_DEP_3) | instskip(NEXT) | instid1(VALU_DEP_3)
	v_dual_mov_b32 v2, v31 :: v_dual_add_nc_u32 v15, 0x990, v22
	v_add_co_u32 v36, s0, v53, v8
	s_delay_alu instid0(VALU_DEP_2) | instskip(NEXT) | instid1(VALU_DEP_3)
	v_mad_co_u64_u32 v[38:39], null, s18, v15, 0
	v_mad_co_u64_u32 v[12:13], null, s19, v5, v[2:3]
	v_add_nc_u32_e32 v14, 0x750, v22
	s_wait_alu 0xf1ff
	v_add_co_ci_u32_e64 v37, s0, v54, v9, s0
	v_add_co_u32 v9, s0, v53, v10
	s_wait_alu 0xf1ff
	v_add_co_ci_u32_e64 v10, s0, v54, v11, s0
	v_mov_b32_e32 v31, v12
	v_mad_co_u64_u32 v[34:35], null, s18, v14, 0
	s_delay_alu instid0(VALU_DEP_1) | instskip(NEXT) | instid1(VALU_DEP_1)
	v_mov_b32_e32 v2, v35
	v_mad_co_u64_u32 v[13:14], null, s19, v14, v[2:3]
	v_mov_b32_e32 v2, v39
	s_clause 0x7
	global_load_b32 v7, v[6:7], off
	global_load_b32 v8, v[0:1], off
	;; [unrolled: 1-line block ×8, first 2 shown]
	v_mad_co_u64_u32 v[9:10], null, s18, v17, 0
	v_lshlrev_b64_e32 v[0:1], 2, v[30:31]
	v_mov_b32_e32 v35, v13
	v_mad_co_u64_u32 v[25:26], null, s19, v15, v[2:3]
	v_add_nc_u32_e32 v24, 0x120, v22
	v_dual_mov_b32 v2, v10 :: v_dual_add_nc_u32 v13, 0x360, v22
	s_delay_alu instid0(VALU_DEP_4)
	v_lshlrev_b64_e32 v[26:27], 2, v[34:35]
	v_add_nc_u32_e32 v15, 0x5a0, v22
	v_add_co_u32 v0, s0, v53, v0
	v_mov_b32_e32 v39, v25
	v_mad_co_u64_u32 v[28:29], null, s18, v24, 0
	v_mad_co_u64_u32 v[30:31], null, s19, v17, v[2:3]
	;; [unrolled: 1-line block ×4, first 2 shown]
	s_delay_alu instid0(VALU_DEP_4)
	v_mov_b32_e32 v2, v29
	v_lshlrev_b64_e32 v[31:32], 2, v[38:39]
	v_mov_b32_e32 v10, v30
	s_wait_alu 0xf1ff
	v_add_co_ci_u32_e64 v1, s0, v54, v1, s0
	v_mad_co_u64_u32 v[29:30], null, s19, v24, v[2:3]
	v_mov_b32_e32 v2, v34
	v_add_co_u32 v26, s0, v53, v26
	s_wait_alu 0xf1ff
	v_add_co_ci_u32_e64 v27, s0, v54, v27, s0
	s_delay_alu instid0(VALU_DEP_3) | instskip(SKIP_3) | instid1(VALU_DEP_3)
	v_mad_co_u64_u32 v[37:38], null, s19, v13, v[2:3]
	v_dual_mov_b32 v2, v36 :: v_dual_add_nc_u32 v13, 0x7e0, v22
	v_lshlrev_b64_e32 v[9:10], 2, v[9:10]
	v_add_co_u32 v30, s0, v53, v31
	v_mad_co_u64_u32 v[38:39], null, s18, v13, 0
	v_dual_mov_b32 v34, v37 :: v_dual_add_nc_u32 v25, 0x1b0, v22
	v_mad_co_u64_u32 v[36:37], null, s19, v15, v[2:3]
	v_add_nc_u32_e32 v15, 0xa20, v22
	v_lshlrev_b64_e32 v[28:29], 2, v[28:29]
	v_mov_b32_e32 v2, v39
	s_wait_alu 0xf1ff
	v_add_co_ci_u32_e64 v31, s0, v54, v32, s0
	v_mad_co_u64_u32 v[41:42], null, s18, v15, 0
	v_add_co_u32 v9, s0, v53, v9
	v_lshlrev_b64_e32 v[32:33], 2, v[33:34]
	v_mad_co_u64_u32 v[39:40], null, s19, v13, v[2:3]
	s_wait_alu 0xf1ff
	v_add_co_ci_u32_e64 v10, s0, v54, v10, s0
	v_add_co_u32 v28, s0, v53, v28
	v_dual_mov_b32 v2, v42 :: v_dual_add_nc_u32 v13, 0xc60, v22
	s_wait_alu 0xf1ff
	v_add_co_ci_u32_e64 v29, s0, v54, v29, s0
	v_add_co_u32 v43, s0, v53, v32
	s_wait_alu 0xf1ff
	v_add_co_ci_u32_e64 v44, s0, v54, v33, s0
	v_lshlrev_b64_e32 v[32:33], 2, v[35:36]
	v_mad_co_u64_u32 v[34:35], null, s18, v13, 0
	v_lshlrev_b64_e32 v[36:37], 2, v[38:39]
	v_mad_co_u64_u32 v[38:39], null, s19, v15, v[2:3]
	v_mad_co_u64_u32 v[47:48], null, s18, v25, 0
	v_add_co_u32 v45, s0, v53, v32
	v_dual_mov_b32 v2, v35 :: v_dual_add_nc_u32 v17, 0x630, v22
	s_delay_alu instid0(VALU_DEP_4)
	v_mov_b32_e32 v42, v38
	s_wait_alu 0xf1ff
	v_add_co_ci_u32_e64 v46, s0, v54, v33, s0
	v_add_co_u32 v35, s0, v53, v36
	s_wait_alu 0xf1ff
	v_add_co_ci_u32_e64 v36, s0, v54, v37, s0
	v_mad_co_u64_u32 v[37:38], null, s19, v13, v[2:3]
	s_clause 0x7
	global_load_b32 v38, v[0:1], off
	global_load_b32 v32, v[26:27], off
	;; [unrolled: 1-line block ×8, first 2 shown]
	v_lshlrev_b64_e32 v[1:2], 2, v[41:42]
	v_dual_mov_b32 v0, v48 :: v_dual_add_nc_u32 v13, 0x3f0, v22
	v_dual_mov_b32 v35, v37 :: v_dual_add_nc_u32 v26, 0x870, v22
	s_delay_alu instid0(VALU_DEP_2) | instskip(NEXT) | instid1(VALU_DEP_3)
	v_mad_co_u64_u32 v[28:29], null, s19, v25, v[0:1]
	v_mad_co_u64_u32 v[29:30], null, s18, v13, 0
	;; [unrolled: 1-line block ×3, first 2 shown]
	v_add_co_u32 v0, s0, v53, v1
	s_wait_alu 0xf1ff
	v_add_co_ci_u32_e64 v1, s0, v54, v2, s0
	s_delay_alu instid0(VALU_DEP_4) | instskip(SKIP_2) | instid1(VALU_DEP_3)
	v_mov_b32_e32 v2, v30
	v_mad_co_u64_u32 v[41:42], null, s18, v26, 0
	v_lshlrev_b64_e32 v[34:35], 2, v[34:35]
	v_mad_co_u64_u32 v[30:31], null, s19, v13, v[2:3]
	v_dual_mov_b32 v2, v37 :: v_dual_add_nc_u32 v13, 0xab0, v22
	s_delay_alu instid0(VALU_DEP_3) | instskip(SKIP_1) | instid1(VALU_DEP_4)
	v_add_co_u32 v34, s0, v53, v34
	s_wait_alu 0xf1ff
	v_add_co_ci_u32_e64 v35, s0, v54, v35, s0
	s_delay_alu instid0(VALU_DEP_3) | instskip(SKIP_3) | instid1(VALU_DEP_4)
	v_mad_co_u64_u32 v[45:46], null, s19, v17, v[2:3]
	v_mov_b32_e32 v48, v28
	v_dual_mov_b32 v2, v42 :: v_dual_add_nc_u32 v17, 0xcf0, v22
	v_lshlrev_b64_e32 v[28:29], 2, v[29:30]
	v_mov_b32_e32 v37, v45
	s_delay_alu instid0(VALU_DEP_4) | instskip(SKIP_3) | instid1(VALU_DEP_4)
	v_lshlrev_b64_e32 v[43:44], 2, v[47:48]
	v_mad_co_u64_u32 v[46:47], null, s18, v13, 0
	v_mad_co_u64_u32 v[48:49], null, s19, v26, v[2:3]
	v_mad_co_u64_u32 v[49:50], null, s18, v17, 0
	v_add_co_u32 v51, s0, v53, v43
	s_delay_alu instid0(VALU_DEP_4)
	v_mov_b32_e32 v2, v47
	s_wait_alu 0xf1ff
	v_add_co_ci_u32_e64 v52, s0, v54, v44, s0
	v_mov_b32_e32 v42, v48
	v_lshlrev_b64_e32 v[36:37], 2, v[36:37]
	v_mad_co_u64_u32 v[30:31], null, s19, v13, v[2:3]
	v_mov_b32_e32 v2, v50
	v_add_co_u32 v28, s0, v53, v28
	s_wait_alu 0xf1ff
	v_add_co_ci_u32_e64 v29, s0, v54, v29, s0
	s_delay_alu instid0(VALU_DEP_3)
	v_mad_co_u64_u32 v[43:44], null, s19, v17, v[2:3]
	v_mov_b32_e32 v47, v30
	v_lshlrev_b64_e32 v[41:42], 2, v[41:42]
	v_add_co_u32 v30, s0, v53, v36
	s_wait_alu 0xf1ff
	v_add_co_ci_u32_e64 v31, s0, v54, v37, s0
	v_mov_b32_e32 v50, v43
	v_lshlrev_b64_e32 v[36:37], 2, v[46:47]
	v_add_co_u32 v41, s0, v53, v41
	s_wait_alu 0xf1ff
	v_add_co_ci_u32_e64 v42, s0, v54, v42, s0
	v_lshlrev_b64_e32 v[43:44], 2, v[49:50]
	s_delay_alu instid0(VALU_DEP_4) | instskip(SKIP_2) | instid1(VALU_DEP_3)
	v_add_co_u32 v36, s0, v53, v36
	s_wait_alu 0xf1ff
	v_add_co_ci_u32_e64 v37, s0, v54, v37, s0
	v_add_co_u32 v47, s0, v53, v43
	s_wait_alu 0xf1ff
	v_add_co_ci_u32_e64 v48, s0, v54, v44, s0
	s_clause 0x7
	global_load_b32 v46, v[0:1], off
	global_load_b32 v43, v[34:35], off
	;; [unrolled: 1-line block ×8, first 2 shown]
	s_wait_loadcnt 0x17
	v_lshrrev_b32_e32 v53, 16, v7
	s_wait_loadcnt 0x16
	v_lshrrev_b32_e32 v56, 16, v8
	;; [unrolled: 2-line block ×24, first 2 shown]
.LBB0_13:
	s_or_b32 exec_lo, exec_lo, s1
	v_add_f16_e32 v0, v14, v16
	v_add_f16_e32 v1, v7, v14
	v_sub_f16_e32 v2, v60, v59
	v_add_f16_e32 v61, v60, v59
	v_sub_f16_e32 v14, v14, v16
	v_fmac_f16_e32 v7, -0.5, v0
	v_add_f16_e32 v1, v1, v16
	v_add_f16_e32 v0, v53, v60
	v_fmac_f16_e32 v53, -0.5, v61
	v_add_f16_e32 v60, v58, v57
	v_fmamk_f16 v16, v2, 0x3aee, v7
	v_fmac_f16_e32 v7, 0xbaee, v2
	v_add_f16_e32 v2, v11, v12
	v_add_f16_e32 v61, v8, v11
	;; [unrolled: 1-line block ×3, first 2 shown]
	v_fmamk_f16 v59, v14, 0xbaee, v53
	v_sub_f16_e32 v11, v11, v12
	v_fmac_f16_e32 v8, -0.5, v2
	v_sub_f16_e32 v2, v58, v57
	v_add_f16_e32 v58, v56, v58
	v_fmac_f16_e32 v56, -0.5, v60
	v_fmac_f16_e32 v53, 0x3aee, v14
	s_load_b64 s[2:3], s[2:3], 0x0
	v_fmamk_f16 v14, v2, 0x3aee, v8
	v_fmac_f16_e32 v8, 0xbaee, v2
	v_add_f16_e32 v2, v61, v12
	v_fmamk_f16 v12, v11, 0xbaee, v56
	v_fmac_f16_e32 v56, 0x3aee, v11
	v_mul_f16_e32 v11, 0.5, v14
	v_mul_f16_e32 v60, -0.5, v8
	v_add_f16_e32 v57, v58, v57
	v_mul_f16_e32 v14, 0xbaee, v14
	v_mul_f16_e32 v58, -0.5, v56
	v_fmac_f16_e32 v11, 0x3aee, v12
	v_fmac_f16_e32 v60, 0x3aee, v56
	v_add_f16_e32 v56, v1, v2
	v_sub_f16_e32 v1, v1, v2
	v_fmac_f16_e32 v58, 0xbaee, v8
	v_add_f16_e32 v8, v16, v11
	v_sub_f16_e32 v2, v16, v11
	v_add_f16_e32 v11, v38, v40
	v_add_f16_e32 v16, v5, v38
	;; [unrolled: 1-line block ×3, first 2 shown]
	v_sub_f16_e32 v0, v0, v57
	v_add_f16_e32 v57, v55, v54
	v_fmac_f16_e32 v5, -0.5, v11
	v_sub_f16_e32 v11, v55, v54
	v_add_f16_e32 v16, v16, v40
	v_sub_f16_e32 v38, v38, v40
	v_add_f16_e32 v63, v53, v58
	v_sub_f16_e32 v53, v53, v58
	v_fmamk_f16 v40, v11, 0x3aee, v5
	v_fmac_f16_e32 v5, 0xbaee, v11
	v_add_f16_e32 v11, v32, v33
	v_add_f16_e32 v55, v47, v55
	v_fmac_f16_e32 v47, -0.5, v57
	v_add_f16_e32 v57, v52, v51
	v_add_f16_e32 v58, v6, v32
	v_fmac_f16_e32 v6, -0.5, v11
	v_sub_f16_e32 v11, v52, v51
	v_add_f16_e32 v54, v55, v54
	v_fmamk_f16 v55, v38, 0xbaee, v47
	v_add_f16_e32 v52, v50, v52
	v_fmac_f16_e32 v50, -0.5, v57
	v_sub_f16_e32 v32, v32, v33
	v_fmac_f16_e32 v47, 0x3aee, v38
	v_fmamk_f16 v38, v11, 0x3aee, v6
	v_fmac_f16_e32 v6, 0xbaee, v11
	v_add_f16_e32 v11, v58, v33
	v_fmamk_f16 v33, v32, 0xbaee, v50
	v_fmac_f16_e32 v50, 0x3aee, v32
	v_mul_f16_e32 v32, 0.5, v38
	v_mul_f16_e32 v57, -0.5, v6
	v_add_f16_e32 v51, v52, v51
	v_mul_f16_e32 v38, 0xbaee, v38
	v_mul_f16_e32 v52, -0.5, v50
	v_fmac_f16_e32 v32, 0x3aee, v33
	v_fmac_f16_e32 v14, 0.5, v12
	v_fmac_f16_e32 v57, 0x3aee, v50
	v_add_f16_e32 v50, v16, v11
	v_fmac_f16_e32 v38, 0.5, v33
	v_fmac_f16_e32 v52, 0xbaee, v6
	v_add_f16_e32 v6, v40, v32
	v_sub_f16_e32 v11, v16, v11
	v_sub_f16_e32 v16, v40, v32
	v_add_f16_e32 v32, v27, v46
	v_add_f16_e32 v62, v59, v14
	v_sub_f16_e32 v14, v59, v14
	v_add_f16_e32 v58, v54, v51
	v_add_f16_e32 v59, v55, v38
	v_sub_f16_e32 v51, v54, v51
	v_sub_f16_e32 v54, v55, v38
	v_add_f16_e32 v38, v9, v27
	v_add_f16_e32 v40, v49, v48
	v_fmac_f16_e32 v9, -0.5, v32
	v_sub_f16_e32 v32, v49, v48
	v_add_f16_e32 v49, v37, v49
	v_add_f16_e32 v38, v38, v46
	v_fmac_f16_e32 v37, -0.5, v40
	v_sub_f16_e32 v27, v27, v46
	v_fmamk_f16 v40, v32, 0x3aee, v9
	v_fmac_f16_e32 v9, 0xbaee, v32
	v_add_f16_e32 v32, v15, v43
	v_add_f16_e32 v46, v49, v48
	;; [unrolled: 1-line block ×4, first 2 shown]
	v_sub_f16_e32 v7, v7, v60
	v_add_f16_e32 v60, v47, v52
	v_sub_f16_e32 v47, v47, v52
	v_add_f16_e32 v52, v10, v15
	v_fmac_f16_e32 v10, -0.5, v32
	v_sub_f16_e32 v32, v45, v44
	v_add_f16_e32 v45, v42, v45
	v_fmac_f16_e32 v42, -0.5, v49
	v_sub_f16_e32 v15, v15, v43
	v_fmamk_f16 v48, v27, 0xbaee, v37
	v_fmac_f16_e32 v37, 0x3aee, v27
	v_fmamk_f16 v27, v32, 0x3aee, v10
	v_fmac_f16_e32 v10, 0xbaee, v32
	v_add_f16_e32 v32, v52, v43
	v_fmamk_f16 v43, v15, 0xbaee, v42
	v_fmac_f16_e32 v42, 0x3aee, v15
	v_mul_f16_e32 v15, 0.5, v27
	v_mul_f16_e32 v49, -0.5, v10
	v_add_f16_e32 v44, v45, v44
	v_mul_f16_e32 v27, 0xbaee, v27
	v_mul_f16_e32 v45, -0.5, v42
	v_fmac_f16_e32 v15, 0x3aee, v43
	v_fmac_f16_e32 v49, 0x3aee, v42
	v_add_f16_e32 v42, v38, v32
	v_fmac_f16_e32 v27, 0.5, v43
	v_fmac_f16_e32 v45, 0xbaee, v10
	v_sub_f16_e32 v32, v38, v32
	v_add_f16_e32 v38, v34, v36
	v_add_f16_e32 v33, v5, v57
	v_sub_f16_e32 v5, v5, v57
	v_add_f16_e32 v10, v40, v15
	v_add_f16_e32 v52, v46, v44
	;; [unrolled: 1-line block ×4, first 2 shown]
	v_sub_f16_e32 v15, v40, v15
	v_sub_f16_e32 v44, v46, v44
	;; [unrolled: 1-line block ×3, first 2 shown]
	v_add_f16_e32 v27, v13, v34
	v_sub_f16_e32 v45, v37, v45
	v_add_f16_e32 v37, v41, v39
	v_fmac_f16_e32 v13, -0.5, v38
	v_sub_f16_e32 v38, v41, v39
	v_add_f16_e32 v40, v17, v41
	v_add_f16_e32 v27, v27, v36
	v_fmac_f16_e32 v17, -0.5, v37
	v_sub_f16_e32 v34, v34, v36
	v_fmamk_f16 v36, v38, 0x3aee, v13
	v_fmac_f16_e32 v13, 0xbaee, v38
	v_add_f16_e32 v37, v29, v30
	v_add_f16_e32 v38, v40, v39
	;; [unrolled: 1-line block ×4, first 2 shown]
	v_sub_f16_e32 v29, v29, v30
	v_fmac_f16_e32 v26, -0.5, v37
	v_sub_f16_e32 v37, v35, v31
	v_add_f16_e32 v35, v28, v35
	v_fmac_f16_e32 v28, -0.5, v40
	v_fmamk_f16 v39, v34, 0xbaee, v17
	v_fmac_f16_e32 v17, 0x3aee, v34
	v_fmamk_f16 v34, v37, 0x3aee, v26
	v_fmac_f16_e32 v26, 0xbaee, v37
	;; [unrolled: 2-line block ×3, first 2 shown]
	v_add_f16_e32 v31, v35, v31
	v_mul_f16_e32 v29, 0.5, v34
	v_mul_f16_e32 v40, -0.5, v26
	v_pack_b32_f16 v1, v12, v1
	v_mul_f16_e32 v35, -0.5, v28
	v_pack_b32_f16 v8, v56, v8
	v_pack_b32_f16 v2, v2, v7
	v_add_f16_e32 v30, v41, v30
	v_mul_f16_e32 v34, 0xbaee, v34
	v_fmac_f16_e32 v35, 0xbaee, v26
	v_mul_u32_u24_e32 v26, 6, v22
	v_fmac_f16_e32 v29, 0x3aee, v37
	v_fmac_f16_e32 v40, 0x3aee, v28
	v_mul_i32_i24_e32 v7, 6, v23
	v_add_f16_e32 v43, v9, v49
	v_lshl_add_u32 v66, v26, 1, 0
	ds_store_2addr_b32 v66, v8, v1 offset1:1
	ds_store_b32 v66, v2 offset:8
	v_mul_i32_i24_e32 v1, 6, v24
	v_sub_f16_e32 v9, v9, v49
	v_add_f16_e32 v41, v27, v30
	v_fmac_f16_e32 v34, 0.5, v37
	v_add_f16_e32 v37, v36, v29
	v_add_f16_e32 v48, v13, v40
	v_sub_f16_e32 v30, v27, v30
	v_lshl_add_u32 v26, v7, 1, 0
	v_mul_i32_i24_e32 v7, 6, v25
	v_sub_f16_e32 v29, v36, v29
	v_sub_f16_e32 v13, v13, v40
	v_pack_b32_f16 v2, v33, v11
	v_pack_b32_f16 v6, v50, v6
	;; [unrolled: 1-line block ×3, first 2 shown]
	v_lshl_add_u32 v27, v1, 1, 0
	v_pack_b32_f16 v1, v43, v32
	v_pack_b32_f16 v8, v42, v10
	;; [unrolled: 1-line block ×3, first 2 shown]
	v_lshl_add_u32 v28, v7, 1, 0
	v_pack_b32_f16 v7, v48, v30
	v_pack_b32_f16 v10, v41, v37
	;; [unrolled: 1-line block ×3, first 2 shown]
	ds_store_2addr_b32 v26, v6, v2 offset1:1
	ds_store_b32 v26, v5 offset:8
	ds_store_2addr_b32 v27, v8, v1 offset1:1
	ds_store_b32 v27, v9 offset:8
	;; [unrolled: 2-line block ×3, first 2 shown]
	v_and_b32_e32 v7, 0xff, v22
	v_mad_i32_i24 v29, v22, -10, v66
	v_pack_b32_f16 v0, v63, v0
	v_pack_b32_f16 v8, v14, v53
	v_mad_i32_i24 v2, v23, -10, v26
	v_mul_lo_u16 v1, 0xab, v7
	v_mad_i32_i24 v5, v24, -10, v27
	v_lshl_add_u32 v30, v3, 1, 0
	v_mad_i32_i24 v6, v25, -10, v28
	v_add_f16_e32 v49, v38, v31
	v_lshrrev_b16 v10, 10, v1
	v_pack_b32_f16 v1, v61, v62
	v_add_f16_e32 v64, v39, v34
	v_add_f16_e32 v65, v17, v35
	v_sub_f16_e32 v31, v38, v31
	v_mul_lo_u16 v13, v10, 6
	v_sub_f16_e32 v34, v39, v34
	v_sub_f16_e32 v17, v17, v35
	global_wb scope:SCOPE_SE
	s_wait_dscnt 0x0
	s_wait_kmcnt 0x0
	s_barrier_signal -1
	s_barrier_wait -1
	global_inv scope:SCOPE_SE
	ds_load_u16 v33, v29
	ds_load_u16 v67, v29 offset:1440
	ds_load_u16 v42, v29 offset:1728
	;; [unrolled: 1-line block ×8, first 2 shown]
	ds_load_u16 v12, v5
	ds_load_u16 v9, v6
	ds_load_u16 v70, v29 offset:2880
	ds_load_u16 v36, v29 offset:3168
	;; [unrolled: 1-line block ×10, first 2 shown]
	ds_load_u16 v32, v2
	ds_load_u16 v77, v30
	ds_load_u16 v78, v29 offset:6624
	global_wb scope:SCOPE_SE
	s_wait_dscnt 0x0
	s_barrier_signal -1
	s_barrier_wait -1
	global_inv scope:SCOPE_SE
	v_pack_b32_f16 v11, v60, v51
	v_pack_b32_f16 v14, v58, v59
	ds_store_2addr_b32 v66, v1, v0 offset1:1
	ds_store_b32 v66, v8 offset:8
	v_and_b32_e32 v1, 0xffff, v23
	v_pack_b32_f16 v15, v54, v47
	v_sub_nc_u16 v0, v22, v13
	ds_store_2addr_b32 v26, v14, v11 offset1:1
	ds_store_b32 v26, v15 offset:8
	v_pack_b32_f16 v8, v57, v44
	v_pack_b32_f16 v13, v52, v55
	v_pack_b32_f16 v14, v65, v31
	v_mul_u32_u24_e32 v31, 0xaaab, v1
	v_and_b32_e32 v11, 0xff, v0
	v_pack_b32_f16 v0, v46, v45
	v_pack_b32_f16 v15, v49, v64
	;; [unrolled: 1-line block ×3, first 2 shown]
	ds_store_2addr_b32 v27, v13, v8 offset1:1
	ds_store_b32 v27, v0 offset:8
	ds_store_2addr_b32 v28, v15, v14 offset1:1
	ds_store_b32 v28, v16 offset:8
	v_lshrrev_b32_e32 v13, 18, v31
	v_mul_u32_u24_e32 v17, 5, v11
	global_wb scope:SCOPE_SE
	s_wait_dscnt 0x0
	s_barrier_signal -1
	s_barrier_wait -1
	v_mul_lo_u16 v0, v13, 6
	v_lshlrev_b32_e32 v34, 2, v17
	global_inv scope:SCOPE_SE
	v_and_b32_e32 v10, 0xffff, v10
	v_lshlrev_b32_e32 v11, 1, v11
	v_sub_nc_u16 v8, v23, v0
	v_and_b32_e32 v0, 0xffff, v24
	s_clause 0x1
	global_load_b128 v[43:46], v34, s[8:9]
	global_load_b32 v59, v34, s[8:9] offset:16
	v_mul_u32_u24_e32 v10, 0x48, v10
	v_and_b32_e32 v15, 0xffff, v8
	v_mul_u32_u24_e32 v8, 0xaaab, v0
	v_mul_u32_u24_e32 v13, 0x48, v13
	v_mul_lo_u16 v7, v7, 57
	v_add3_u32 v10, 0, v10, v11
	v_mul_u32_u24_e32 v16, 5, v15
	v_lshrrev_b32_e32 v14, 18, v8
	v_lshlrev_b32_e32 v15, 1, v15
	v_lshrrev_b16 v7, 11, v7
	v_mul_u32_u24_e32 v1, 0xe38f, v1
	v_lshlrev_b32_e32 v55, 2, v16
	v_mul_lo_u16 v8, v14, 6
	v_mul_u32_u24_e32 v11, 0x48, v14
	v_add3_u32 v13, 0, v13, v15
	v_lshrrev_b32_e32 v1, 21, v1
	s_clause 0x1
	global_load_b128 v[47:50], v55, s[8:9]
	global_load_b32 v60, v55, s[8:9] offset:16
	v_sub_nc_u16 v8, v24, v8
	v_mul_u32_u24_e32 v0, 0xe38f, v0
	v_cmp_gt_u32_e64 s0, 0x48, v22
	s_delay_alu instid0(VALU_DEP_3) | instskip(NEXT) | instid1(VALU_DEP_3)
	v_and_b32_e32 v17, 0xffff, v8
	v_lshrrev_b32_e32 v0, 21, v0
	s_delay_alu instid0(VALU_DEP_2) | instskip(SKIP_1) | instid1(VALU_DEP_2)
	v_mul_u32_u24_e32 v8, 5, v17
	v_lshlrev_b32_e32 v14, 1, v17
	v_lshlrev_b32_e32 v56, 2, v8
	v_and_b32_e32 v8, 0xffff, v25
	s_delay_alu instid0(VALU_DEP_3)
	v_add3_u32 v14, 0, v11, v14
	s_clause 0x1
	global_load_b128 v[51:54], v56, s[8:9]
	global_load_b32 v61, v56, s[8:9] offset:16
	v_mul_u32_u24_e32 v16, 0xaaab, v8
	v_mul_u32_u24_e32 v8, 0xe38f, v8
	s_delay_alu instid0(VALU_DEP_2) | instskip(NEXT) | instid1(VALU_DEP_2)
	v_lshrrev_b32_e32 v16, 18, v16
	v_lshrrev_b32_e32 v8, 21, v8
	s_delay_alu instid0(VALU_DEP_2) | instskip(SKIP_1) | instid1(VALU_DEP_2)
	v_mul_lo_u16 v31, v16, 6
	v_mul_u32_u24_e32 v11, 0x48, v16
	v_sub_nc_u16 v31, v25, v31
	s_delay_alu instid0(VALU_DEP_1) | instskip(NEXT) | instid1(VALU_DEP_1)
	v_and_b32_e32 v31, 0xffff, v31
	v_mul_u32_u24_e32 v34, 5, v31
	v_lshlrev_b32_e32 v15, 1, v31
	s_delay_alu instid0(VALU_DEP_2)
	v_lshlrev_b32_e32 v34, 2, v34
	s_clause 0x1
	global_load_b128 v[55:58], v34, s[8:9]
	global_load_b32 v62, v34, s[8:9] offset:16
	ds_load_u16 v63, v30
	ds_load_u16 v64, v29 offset:2304
	ds_load_u16 v65, v29 offset:3456
	;; [unrolled: 1-line block ×5, first 2 shown]
	ds_load_u16 v81, v2
	ds_load_u16 v82, v5
	ds_load_u16 v34, v6
	ds_load_u16 v83, v29 offset:2592
	ds_load_u16 v84, v29 offset:2880
	;; [unrolled: 1-line block ×9, first 2 shown]
	v_add3_u32 v17, 0, v11, v15
	s_wait_loadcnt 0x7
	v_lshrrev_b32_e32 v86, 16, v43
	v_lshrrev_b32_e32 v89, 16, v44
	s_wait_dscnt 0x11
	s_delay_alu instid0(VALU_DEP_2)
	v_mul_f16_e32 v91, v63, v86
	v_mul_f16_e32 v86, v77, v86
	s_wait_dscnt 0x10
	v_mul_f16_e32 v95, v64, v89
	v_mul_f16_e32 v89, v72, v89
	v_fma_f16 v77, v77, v43, -v91
	v_lshrrev_b32_e32 v91, 16, v45
	v_fmac_f16_e32 v86, v63, v43
	v_fma_f16 v63, v72, v44, -v95
	v_fmac_f16_e32 v89, v64, v44
	v_lshrrev_b32_e32 v44, 16, v46
	s_wait_dscnt 0xf
	v_mul_f16_e32 v72, v65, v91
	v_mul_f16_e32 v64, v68, v91
	ds_load_u16 v43, v29 offset:4320
	s_wait_loadcnt 0x5
	v_lshrrev_b32_e32 v91, 16, v49
	v_fma_f16 v68, v68, v45, -v72
	s_wait_dscnt 0x4
	v_mul_f16_e32 v72, v90, v44
	v_mul_f16_e32 v44, v75, v44
	v_fmac_f16_e32 v64, v65, v45
	v_lshrrev_b32_e32 v45, 16, v47
	s_delay_alu instid0(VALU_DEP_4)
	v_fma_f16 v65, v75, v46, -v72
	ds_load_u16 v72, v29 offset:1728
	v_fmac_f16_e32 v44, v90, v46
	ds_load_u16 v46, v29
	v_lshrrev_b32_e32 v75, 16, v48
	v_mul_f16_e32 v90, v80, v45
	v_mul_f16_e32 v45, v67, v45
	s_delay_alu instid0(VALU_DEP_3) | instskip(NEXT) | instid1(VALU_DEP_3)
	v_mul_f16_e32 v95, v83, v75
	v_fma_f16 v67, v67, v47, -v90
	v_lshrrev_b32_e32 v90, 16, v50
	v_mul_f16_e32 v75, v71, v75
	v_fmac_f16_e32 v45, v80, v47
	v_mul_f16_e32 v47, v66, v91
	v_fma_f16 v71, v71, v48, -v95
	v_mul_f16_e32 v80, v69, v91
	v_fmac_f16_e32 v75, v83, v48
	s_wait_dscnt 0x5
	v_mul_f16_e32 v48, v92, v90
	v_mul_f16_e32 v83, v74, v90
	v_fma_f16 v47, v69, v49, -v47
	s_wait_loadcnt 0x3
	v_lshrrev_b32_e32 v69, 16, v51
	v_fmac_f16_e32 v80, v66, v49
	v_fma_f16 v48, v74, v50, -v48
	ds_load_u16 v66, v29 offset:5760
	ds_load_u16 v74, v29 offset:6048
	;; [unrolled: 1-line block ×3, first 2 shown]
	v_fmac_f16_e32 v83, v92, v50
	v_lshrrev_b32_e32 v49, 16, v52
	s_wait_dscnt 0x4
	v_mul_f16_e32 v50, v72, v69
	v_lshrrev_b32_e32 v91, 16, v53
	v_mul_f16_e32 v69, v42, v69
	global_wb scope:SCOPE_SE
	s_wait_loadcnt_dscnt 0x0
	v_mul_f16_e32 v92, v84, v49
	v_fma_f16 v42, v42, v51, -v50
	v_mul_f16_e32 v49, v70, v49
	v_lshrrev_b32_e32 v50, 16, v54
	v_fmac_f16_e32 v69, v72, v51
	v_mul_f16_e32 v51, v79, v91
	v_fma_f16 v70, v70, v52, -v92
	v_fmac_f16_e32 v49, v84, v52
	v_mul_f16_e32 v52, v41, v91
	v_mul_f16_e32 v72, v93, v50
	v_lshrrev_b32_e32 v84, 16, v59
	v_mul_f16_e32 v50, v73, v50
	v_fma_f16 v41, v41, v53, -v51
	v_fmac_f16_e32 v52, v79, v53
	v_fma_f16 v51, v73, v54, -v72
	v_mul_f16_e32 v53, v66, v84
	v_lshrrev_b32_e32 v72, 16, v60
	v_fmac_f16_e32 v50, v93, v54
	v_mul_f16_e32 v54, v40, v84
	v_lshrrev_b32_e32 v73, 16, v61
	v_fma_f16 v40, v40, v59, -v53
	v_mul_f16_e32 v53, v74, v72
	v_mul_f16_e32 v72, v39, v72
	v_fmac_f16_e32 v54, v66, v59
	v_mul_f16_e32 v59, v90, v73
	v_mul_f16_e32 v66, v37, v73
	v_fma_f16 v39, v39, v60, -v53
	v_lshrrev_b32_e32 v53, 16, v55
	v_fmac_f16_e32 v72, v74, v60
	v_fma_f16 v37, v37, v61, -v59
	v_lshrrev_b32_e32 v59, 16, v56
	v_fmac_f16_e32 v66, v90, v61
	v_lshrrev_b32_e32 v60, 16, v57
	v_mul_f16_e32 v61, v87, v53
	v_mul_f16_e32 v53, v38, v53
	v_lshrrev_b32_e32 v73, 16, v58
	v_mul_f16_e32 v74, v85, v59
	v_mul_f16_e32 v59, v36, v59
	v_fma_f16 v38, v38, v55, -v61
	v_fmac_f16_e32 v53, v87, v55
	v_mul_f16_e32 v55, v43, v60
	v_fma_f16 v36, v36, v56, -v74
	v_fmac_f16_e32 v59, v85, v56
	v_mul_f16_e32 v56, v76, v60
	v_mul_f16_e32 v60, v94, v73
	;; [unrolled: 1-line block ×3, first 2 shown]
	v_lshrrev_b32_e32 v73, 16, v62
	v_fma_f16 v55, v76, v57, -v55
	v_fmac_f16_e32 v56, v43, v57
	v_fma_f16 v35, v35, v58, -v60
	v_fmac_f16_e32 v61, v94, v58
	v_mul_f16_e32 v57, v88, v73
	v_mul_f16_e32 v58, v78, v73
	v_add_f16_e32 v60, v33, v63
	v_add_f16_e32 v76, v68, v40
	;; [unrolled: 1-line block ×3, first 2 shown]
	v_fma_f16 v57, v78, v62, -v57
	v_fmac_f16_e32 v58, v88, v62
	v_add_f16_e32 v62, v89, v44
	v_add_f16_e32 v60, v60, v65
	;; [unrolled: 1-line block ×3, first 2 shown]
	v_fmac_f16_e32 v33, -0.5, v43
	v_sub_f16_e32 v43, v89, v44
	v_fmac_f16_e32 v46, -0.5, v62
	v_sub_f16_e32 v62, v63, v65
	v_add_f16_e32 v63, v64, v54
	v_add_f16_e32 v65, v77, v68
	v_fmac_f16_e32 v77, -0.5, v76
	v_sub_f16_e32 v76, v64, v54
	v_add_f16_e32 v64, v86, v64
	v_fmac_f16_e32 v86, -0.5, v63
	v_sub_f16_e32 v63, v68, v40
	v_fmamk_f16 v73, v43, 0x3aee, v33
	v_fmamk_f16 v68, v76, 0x3aee, v77
	v_fmac_f16_e32 v77, 0xbaee, v76
	v_fmac_f16_e32 v33, 0xbaee, v43
	v_add_f16_e32 v43, v74, v44
	v_fmamk_f16 v74, v63, 0xbaee, v86
	v_fmac_f16_e32 v86, 0x3aee, v63
	v_mul_f16_e32 v63, -0.5, v77
	v_fmamk_f16 v44, v62, 0xbaee, v46
	v_fmac_f16_e32 v46, 0x3aee, v62
	v_add_f16_e32 v40, v65, v40
	v_mul_f16_e32 v62, 0x3aee, v74
	v_mul_f16_e32 v65, -0.5, v86
	v_fmac_f16_e32 v63, 0x3aee, v86
	v_add_f16_e32 v54, v64, v54
	v_mul_f16_e32 v64, 0xbaee, v68
	v_fmac_f16_e32 v62, 0.5, v68
	v_fmac_f16_e32 v65, 0xbaee, v77
	v_add_f16_e32 v76, v33, v63
	v_sub_f16_e32 v33, v33, v63
	v_add_f16_e32 v63, v75, v83
	v_add_f16_e32 v68, v60, v40
	v_fmac_f16_e32 v64, 0.5, v74
	v_add_f16_e32 v74, v73, v62
	v_add_f16_e32 v77, v43, v54
	;; [unrolled: 1-line block ×3, first 2 shown]
	v_sub_f16_e32 v40, v60, v40
	v_add_f16_e32 v60, v71, v48
	v_sub_f16_e32 v62, v73, v62
	v_sub_f16_e32 v43, v43, v54
	v_add_f16_e32 v54, v32, v71
	v_sub_f16_e32 v46, v46, v65
	v_add_f16_e32 v65, v81, v75
	v_add_f16_e32 v73, v47, v39
	v_fmac_f16_e32 v81, -0.5, v63
	v_add_f16_e32 v63, v80, v72
	v_fmac_f16_e32 v32, -0.5, v60
	v_sub_f16_e32 v60, v75, v83
	v_add_f16_e32 v54, v54, v48
	v_sub_f16_e32 v48, v71, v48
	v_add_f16_e32 v71, v67, v47
	v_fmac_f16_e32 v67, -0.5, v73
	v_sub_f16_e32 v73, v80, v72
	v_add_f16_e32 v75, v45, v80
	v_fmac_f16_e32 v45, -0.5, v63
	v_sub_f16_e32 v47, v47, v39
	v_add_f16_e32 v78, v44, v64
	v_sub_f16_e32 v44, v44, v64
	v_fmamk_f16 v64, v60, 0x3aee, v32
	v_fmac_f16_e32 v32, 0xbaee, v60
	v_add_f16_e32 v60, v65, v83
	v_fmamk_f16 v65, v73, 0x3aee, v67
	v_fmamk_f16 v80, v47, 0xbaee, v45
	v_fmac_f16_e32 v67, 0xbaee, v73
	v_fmac_f16_e32 v45, 0x3aee, v47
	v_fmamk_f16 v63, v48, 0xbaee, v81
	v_fmac_f16_e32 v81, 0x3aee, v48
	v_mul_f16_e32 v47, 0x3aee, v80
	v_mul_f16_e32 v48, -0.5, v67
	v_mul_f16_e32 v73, -0.5, v45
	v_add_f16_e32 v39, v71, v39
	v_add_f16_e32 v71, v75, v72
	v_fmac_f16_e32 v47, 0.5, v65
	v_fmac_f16_e32 v48, 0x3aee, v45
	v_fmac_f16_e32 v73, 0xbaee, v67
	v_mul_f16_e32 v72, 0xbaee, v65
	v_add_f16_e32 v45, v54, v39
	v_add_f16_e32 v65, v64, v47
	;; [unrolled: 1-line block ×5, first 2 shown]
	v_sub_f16_e32 v39, v54, v39
	v_add_f16_e32 v54, v70, v51
	v_sub_f16_e32 v47, v64, v47
	v_sub_f16_e32 v32, v32, v48
	;; [unrolled: 1-line block ×3, first 2 shown]
	v_add_f16_e32 v60, v12, v70
	v_sub_f16_e32 v64, v81, v73
	v_add_f16_e32 v71, v49, v50
	v_add_f16_e32 v73, v41, v37
	v_fmac_f16_e32 v72, 0.5, v80
	v_fmac_f16_e32 v12, -0.5, v54
	v_sub_f16_e32 v54, v49, v50
	v_add_f16_e32 v60, v60, v51
	v_add_f16_e32 v49, v82, v49
	v_fmac_f16_e32 v82, -0.5, v71
	v_sub_f16_e32 v51, v70, v51
	v_add_f16_e32 v70, v52, v66
	v_add_f16_e32 v71, v42, v41
	v_fmac_f16_e32 v42, -0.5, v73
	v_sub_f16_e32 v73, v52, v66
	v_add_f16_e32 v80, v63, v72
	v_sub_f16_e32 v63, v63, v72
	v_fmamk_f16 v72, v54, 0x3aee, v12
	v_add_f16_e32 v52, v69, v52
	v_fmac_f16_e32 v69, -0.5, v70
	v_sub_f16_e32 v41, v41, v37
	v_fmac_f16_e32 v12, 0xbaee, v54
	v_fmamk_f16 v54, v73, 0x3aee, v42
	v_fmac_f16_e32 v42, 0xbaee, v73
	v_add_f16_e32 v49, v49, v50
	v_fmamk_f16 v50, v51, 0xbaee, v82
	v_fmamk_f16 v70, v41, 0xbaee, v69
	v_fmac_f16_e32 v82, 0x3aee, v51
	v_fmac_f16_e32 v69, 0x3aee, v41
	v_mul_f16_e32 v51, -0.5, v42
	v_add_f16_e32 v52, v52, v66
	v_mul_f16_e32 v41, 0x3aee, v70
	v_mul_f16_e32 v66, 0xbaee, v54
	v_add_f16_e32 v37, v71, v37
	v_fmac_f16_e32 v51, 0x3aee, v69
	v_mul_f16_e32 v71, -0.5, v69
	v_fmac_f16_e32 v41, 0.5, v54
	v_fmac_f16_e32 v66, 0.5, v70
	v_add_f16_e32 v54, v60, v37
	v_add_f16_e32 v69, v12, v51
	v_sub_f16_e32 v12, v12, v51
	v_add_f16_e32 v51, v9, v36
	v_fmac_f16_e32 v71, 0xbaee, v42
	v_add_f16_e32 v42, v72, v41
	v_add_f16_e32 v73, v50, v66
	v_sub_f16_e32 v37, v60, v37
	v_add_f16_e32 v60, v36, v35
	v_sub_f16_e32 v41, v72, v41
	v_sub_f16_e32 v50, v50, v66
	v_add_f16_e32 v66, v59, v61
	v_add_f16_e32 v51, v51, v35
	;; [unrolled: 1-line block ×3, first 2 shown]
	v_sub_f16_e32 v35, v36, v35
	v_add_f16_e32 v36, v56, v58
	v_add_f16_e32 v70, v49, v52
	v_sub_f16_e32 v49, v49, v52
	v_fmac_f16_e32 v9, -0.5, v60
	v_sub_f16_e32 v52, v59, v61
	v_add_f16_e32 v59, v34, v59
	v_fmac_f16_e32 v34, -0.5, v66
	v_add_f16_e32 v66, v38, v55
	v_fmac_f16_e32 v38, -0.5, v72
	v_sub_f16_e32 v72, v56, v58
	v_add_f16_e32 v56, v53, v56
	v_fmac_f16_e32 v53, -0.5, v36
	v_sub_f16_e32 v36, v55, v57
	v_add_f16_e32 v81, v82, v71
	v_sub_f16_e32 v60, v82, v71
	v_fmamk_f16 v71, v52, 0x3aee, v9
	v_fmac_f16_e32 v9, 0xbaee, v52
	v_add_f16_e32 v52, v59, v61
	v_fmamk_f16 v59, v72, 0x3aee, v38
	v_fmamk_f16 v61, v36, 0xbaee, v53
	v_fmac_f16_e32 v38, 0xbaee, v72
	v_fmamk_f16 v55, v35, 0xbaee, v34
	v_fmac_f16_e32 v34, 0x3aee, v35
	v_add_f16_e32 v35, v66, v57
	v_fmac_f16_e32 v53, 0x3aee, v36
	v_mul_f16_e32 v36, 0x3aee, v61
	v_mul_f16_e32 v57, -0.5, v38
	v_add_f16_e32 v56, v56, v58
	v_mul_f16_e32 v58, 0xbaee, v59
	v_mul_f16_e32 v66, -0.5, v53
	v_fmac_f16_e32 v36, 0.5, v59
	v_fmac_f16_e32 v57, 0x3aee, v53
	v_add_f16_e32 v53, v51, v35
	v_fmac_f16_e32 v58, 0.5, v61
	v_fmac_f16_e32 v66, 0xbaee, v38
	v_add_f16_e32 v38, v71, v36
	v_add_f16_e32 v59, v9, v57
	v_sub_f16_e32 v35, v51, v35
	v_sub_f16_e32 v36, v71, v36
	;; [unrolled: 1-line block ×3, first 2 shown]
	s_barrier_signal -1
	s_barrier_wait -1
	global_inv scope:SCOPE_SE
	ds_store_b16 v10, v68
	ds_store_b16 v10, v74 offset:12
	ds_store_b16 v10, v76 offset:24
	ds_store_b16 v10, v40 offset:36
	ds_store_b16 v10, v62 offset:48
	ds_store_b16 v10, v33 offset:60
	ds_store_b16 v13, v45
	ds_store_b16 v13, v65 offset:12
	ds_store_b16 v13, v67 offset:24
	ds_store_b16 v13, v39 offset:36
	ds_store_b16 v13, v47 offset:48
	ds_store_b16 v13, v32 offset:60
	ds_store_b16 v14, v54
	ds_store_b16 v14, v42 offset:12
	ds_store_b16 v14, v69 offset:24
	ds_store_b16 v14, v37 offset:36
	ds_store_b16 v14, v41 offset:48
	ds_store_b16 v14, v12 offset:60
	ds_store_b16 v17, v53
	ds_store_b16 v17, v38 offset:12
	ds_store_b16 v17, v59 offset:24
	ds_store_b16 v17, v35 offset:36
	ds_store_b16 v17, v36 offset:48
	ds_store_b16 v17, v9 offset:60
	v_mul_lo_u16 v12, v7, 36
	v_add_f16_e32 v61, v52, v56
	v_add_f16_e32 v72, v55, v58
	;; [unrolled: 1-line block ×3, first 2 shown]
	v_sub_f16_e32 v51, v52, v56
	v_sub_f16_e32 v52, v55, v58
	;; [unrolled: 1-line block ×3, first 2 shown]
	global_wb scope:SCOPE_SE
	s_wait_dscnt 0x0
	s_barrier_signal -1
	s_barrier_wait -1
	global_inv scope:SCOPE_SE
	ds_load_u16 v15, v29
	ds_load_u16 v47, v29 offset:1440
	ds_load_u16 v53, v29 offset:1728
	;; [unrolled: 1-line block ×8, first 2 shown]
	ds_load_u16 v11, v5
	ds_load_u16 v9, v6
	ds_load_u16 v62, v29 offset:2880
	ds_load_u16 v65, v29 offset:3168
	;; [unrolled: 1-line block ×10, first 2 shown]
	ds_load_u16 v16, v2
	ds_load_u16 v85, v30
	ds_load_u16 v86, v29 offset:6624
	global_wb scope:SCOPE_SE
	s_wait_dscnt 0x0
	s_barrier_signal -1
	s_barrier_wait -1
	global_inv scope:SCOPE_SE
	ds_store_b16 v10, v77
	ds_store_b16 v10, v78 offset:12
	ds_store_b16 v10, v79 offset:24
	;; [unrolled: 1-line block ×5, first 2 shown]
	v_sub_nc_u16 v10, v22, v12
	ds_store_b16 v13, v75
	ds_store_b16 v13, v80 offset:12
	ds_store_b16 v13, v83 offset:24
	ds_store_b16 v13, v48 offset:36
	ds_store_b16 v13, v63 offset:48
	ds_store_b16 v13, v64 offset:60
	ds_store_b16 v14, v70
	ds_store_b16 v14, v73 offset:12
	ds_store_b16 v14, v81 offset:24
	ds_store_b16 v14, v49 offset:36
	ds_store_b16 v14, v50 offset:48
	ds_store_b16 v14, v60 offset:60
	;; [unrolled: 6-line block ×3, first 2 shown]
	global_wb scope:SCOPE_SE
	s_wait_dscnt 0x0
	v_and_b32_e32 v10, 0xff, v10
	s_barrier_signal -1
	s_barrier_wait -1
	global_inv scope:SCOPE_SE
	v_mul_lo_u16 v17, v0, 36
	v_mul_u32_u24_e32 v12, 5, v10
	v_and_b32_e32 v7, 0xffff, v7
	v_lshlrev_b32_e32 v10, 1, v10
	v_mul_u32_u24_e32 v0, 0x1b0, v0
	v_sub_nc_u16 v17, v24, v17
	v_lshlrev_b32_e32 v13, 2, v12
	v_mul_lo_u16 v12, v1, 36
	v_mul_u32_u24_e32 v7, 0x1b0, v7
	v_mul_u32_u24_e32 v1, 0x1b0, v1
	s_clause 0x1
	global_load_b128 v[31:34], v13, s[8:9] offset:120
	global_load_b32 v48, v13, s[8:9] offset:136
	v_sub_nc_u16 v12, v23, v12
	v_and_b32_e32 v13, 0xffff, v17
	v_add3_u32 v7, 0, v7, v10
	s_delay_alu instid0(VALU_DEP_3) | instskip(NEXT) | instid1(VALU_DEP_3)
	v_and_b32_e32 v12, 0xffff, v12
	v_mul_u32_u24_e32 v17, 5, v13
	v_lshlrev_b32_e32 v10, 1, v13
	s_delay_alu instid0(VALU_DEP_3) | instskip(NEXT) | instid1(VALU_DEP_3)
	v_mul_u32_u24_e32 v14, 5, v12
	v_lshlrev_b32_e32 v17, 2, v17
	v_lshlrev_b32_e32 v12, 1, v12
	s_delay_alu instid0(VALU_DEP_4) | instskip(NEXT) | instid1(VALU_DEP_4)
	v_add3_u32 v0, 0, v0, v10
	v_lshlrev_b32_e32 v14, 2, v14
	s_clause 0x1
	global_load_b128 v[39:42], v17, s[8:9] offset:120
	global_load_b32 v50, v17, s[8:9] offset:136
	v_add3_u32 v1, 0, v1, v12
	s_clause 0x1
	global_load_b128 v[35:38], v14, s[8:9] offset:120
	global_load_b32 v49, v14, s[8:9] offset:136
	v_mul_lo_u16 v14, v8, 36
	v_mul_u32_u24_e32 v8, 0x1b0, v8
	s_delay_alu instid0(VALU_DEP_2) | instskip(NEXT) | instid1(VALU_DEP_1)
	v_sub_nc_u16 v14, v25, v14
	v_and_b32_e32 v14, 0xffff, v14
	s_delay_alu instid0(VALU_DEP_1) | instskip(SKIP_1) | instid1(VALU_DEP_2)
	v_mul_u32_u24_e32 v43, 5, v14
	v_lshlrev_b32_e32 v10, 1, v14
	v_lshlrev_b32_e32 v17, 2, v43
	s_clause 0x1
	global_load_b128 v[43:46], v17, s[8:9] offset:120
	global_load_b32 v51, v17, s[8:9] offset:136
	ds_load_u16 v52, v30
	ds_load_u16 v60, v29 offset:2304
	ds_load_u16 v61, v29
	ds_load_u16 v63, v29 offset:1440
	ds_load_u16 v64, v29 offset:3456
	ds_load_u16 v70, v29 offset:3744
	ds_load_u16 v72, v29 offset:4032
	ds_load_u16 v75, v2
	ds_load_u16 v77, v5
	;; [unrolled: 1-line block ×3, first 2 shown]
	ds_load_u16 v78, v29 offset:6624
	ds_load_u16 v80, v29 offset:4608
	v_add3_u32 v12, 0, v8, v10
	s_wait_loadcnt 0x7
	v_lshrrev_b32_e32 v73, 16, v31
	v_lshrrev_b32_e32 v81, 16, v32
	;; [unrolled: 1-line block ×3, first 2 shown]
	s_wait_dscnt 0xb
	s_delay_alu instid0(VALU_DEP_3)
	v_mul_f16_e32 v79, v52, v73
	v_mul_f16_e32 v73, v85, v73
	s_wait_dscnt 0xa
	v_mul_f16_e32 v89, v60, v81
	s_wait_dscnt 0x7
	v_mul_f16_e32 v93, v64, v82
	v_mul_f16_e32 v82, v54, v82
	v_fma_f16 v79, v85, v31, -v79
	v_fmac_f16_e32 v73, v52, v31
	v_mul_f16_e32 v31, v67, v81
	v_lshrrev_b32_e32 v52, 16, v34
	ds_load_u16 v83, v29 offset:2592
	ds_load_u16 v85, v29 offset:2880
	;; [unrolled: 1-line block ×4, first 2 shown]
	v_fma_f16 v67, v67, v32, -v89
	ds_load_u16 v81, v29 offset:4896
	ds_load_u16 v90, v29 offset:5184
	;; [unrolled: 1-line block ×4, first 2 shown]
	v_fmac_f16_e32 v31, v60, v32
	s_wait_dscnt 0x8
	v_mul_f16_e32 v32, v80, v52
	v_mul_f16_e32 v52, v76, v52
	v_fma_f16 v54, v54, v33, -v93
	v_fmac_f16_e32 v82, v64, v33
	s_wait_loadcnt 0x3
	v_lshrrev_b32_e32 v33, 16, v35
	v_fma_f16 v32, v76, v34, -v32
	v_fmac_f16_e32 v52, v80, v34
	ds_load_u16 v60, v29 offset:1728
	ds_load_u16 v76, v29 offset:5760
	;; [unrolled: 1-line block ×3, first 2 shown]
	v_lshrrev_b32_e32 v34, 16, v36
	v_mul_f16_e32 v64, v63, v33
	v_lshrrev_b32_e32 v89, 16, v37
	v_mul_f16_e32 v33, v47, v33
	s_wait_dscnt 0xa
	v_mul_f16_e32 v93, v83, v34
	v_fma_f16 v47, v47, v35, -v64
	v_lshrrev_b32_e32 v64, 16, v38
	v_mul_f16_e32 v34, v66, v34
	v_fmac_f16_e32 v33, v63, v35
	v_mul_f16_e32 v35, v70, v89
	v_mul_f16_e32 v89, v55, v89
	v_fma_f16 v63, v66, v36, -v93
	v_lshrrev_b32_e32 v66, 16, v48
	v_fmac_f16_e32 v34, v83, v36
	v_fma_f16 v35, v55, v37, -v35
	s_wait_dscnt 0x6
	v_mul_f16_e32 v36, v81, v64
	v_mul_f16_e32 v55, v74, v64
	v_fmac_f16_e32 v89, v70, v37
	s_wait_loadcnt 0x2
	v_lshrrev_b32_e32 v37, 16, v49
	ds_load_u16 v64, v29 offset:6336
	s_wait_dscnt 0x2
	v_mul_f16_e32 v70, v76, v66
	v_fma_f16 v36, v74, v38, -v36
	v_fmac_f16_e32 v55, v81, v38
	v_mul_f16_e32 v38, v57, v66
	s_wait_dscnt 0x1
	v_mul_f16_e32 v66, v80, v37
	v_fma_f16 v57, v57, v48, -v70
	v_mul_f16_e32 v37, v58, v37
	v_lshrrev_b32_e32 v70, 16, v39
	v_fmac_f16_e32 v38, v76, v48
	v_fma_f16 v48, v58, v49, -v66
	v_lshrrev_b32_e32 v58, 16, v40
	v_fmac_f16_e32 v37, v80, v49
	v_mul_f16_e32 v49, v60, v70
	v_lshrrev_b32_e32 v66, 16, v41
	v_mul_f16_e32 v70, v53, v70
	v_mul_f16_e32 v74, v85, v58
	;; [unrolled: 1-line block ×3, first 2 shown]
	v_fma_f16 v49, v53, v39, -v49
	v_lshrrev_b32_e32 v53, 16, v42
	v_fmac_f16_e32 v70, v60, v39
	v_mul_f16_e32 v39, v72, v66
	v_fma_f16 v60, v62, v40, -v74
	v_fmac_f16_e32 v58, v85, v40
	v_mul_f16_e32 v40, v56, v66
	v_lshrrev_b32_e32 v62, 16, v50
	v_fma_f16 v39, v56, v41, -v39
	v_mul_f16_e32 v56, v90, v53
	v_mul_f16_e32 v53, v69, v53
	v_fmac_f16_e32 v40, v72, v41
	s_wait_dscnt 0x0
	v_mul_f16_e32 v41, v64, v62
	v_mul_f16_e32 v62, v59, v62
	v_fma_f16 v56, v69, v42, -v56
	v_fmac_f16_e32 v53, v90, v42
	s_wait_loadcnt 0x1
	v_lshrrev_b32_e32 v42, 16, v43
	v_fma_f16 v41, v59, v50, -v41
	v_fmac_f16_e32 v62, v64, v50
	v_lshrrev_b32_e32 v50, 16, v44
	v_lshrrev_b32_e32 v59, 16, v45
	v_mul_f16_e32 v64, v88, v42
	v_mul_f16_e32 v42, v68, v42
	v_lshrrev_b32_e32 v66, 16, v46
	v_mul_f16_e32 v69, v87, v50
	v_mul_f16_e32 v50, v65, v50
	v_fma_f16 v64, v68, v43, -v64
	v_fmac_f16_e32 v42, v88, v43
	v_mul_f16_e32 v43, v92, v59
	v_fma_f16 v65, v65, v44, -v69
	v_fmac_f16_e32 v50, v87, v44
	v_mul_f16_e32 v44, v84, v59
	v_mul_f16_e32 v59, v91, v66
	;; [unrolled: 1-line block ×3, first 2 shown]
	s_wait_loadcnt 0x0
	v_lshrrev_b32_e32 v68, 16, v51
	v_fma_f16 v43, v84, v45, -v43
	v_fmac_f16_e32 v44, v92, v45
	v_fma_f16 v45, v71, v46, -v59
	v_fmac_f16_e32 v66, v91, v46
	v_mul_f16_e32 v46, v78, v68
	v_mul_f16_e32 v68, v86, v68
	v_add_f16_e32 v59, v67, v32
	v_add_f16_e32 v69, v15, v67
	;; [unrolled: 1-line block ×3, first 2 shown]
	v_fma_f16 v46, v86, v51, -v46
	v_fmac_f16_e32 v68, v78, v51
	v_add_f16_e32 v51, v31, v52
	v_fmac_f16_e32 v15, -0.5, v59
	v_sub_f16_e32 v59, v31, v52
	v_add_f16_e32 v31, v61, v31
	v_add_f16_e32 v69, v69, v32
	v_fmac_f16_e32 v61, -0.5, v51
	v_add_f16_e32 v51, v82, v38
	v_sub_f16_e32 v32, v67, v32
	v_add_f16_e32 v67, v79, v54
	v_fmac_f16_e32 v79, -0.5, v72
	v_sub_f16_e32 v72, v82, v38
	v_add_f16_e32 v74, v73, v82
	v_fmac_f16_e32 v73, -0.5, v51
	v_sub_f16_e32 v51, v54, v57
	v_fmamk_f16 v71, v59, 0x3aee, v15
	v_fmac_f16_e32 v15, 0xbaee, v59
	v_fmamk_f16 v54, v72, 0x3aee, v79
	v_add_f16_e32 v31, v31, v52
	v_fmamk_f16 v59, v51, 0xbaee, v73
	v_fmamk_f16 v52, v32, 0xbaee, v61
	v_fmac_f16_e32 v79, 0xbaee, v72
	v_fmac_f16_e32 v61, 0x3aee, v32
	v_add_f16_e32 v32, v67, v57
	v_fmac_f16_e32 v73, 0x3aee, v51
	v_mul_f16_e32 v51, 0x3aee, v59
	v_add_f16_e32 v38, v74, v38
	v_mul_f16_e32 v67, 0xbaee, v54
	v_mul_f16_e32 v57, -0.5, v79
	v_mul_f16_e32 v72, -0.5, v73
	v_fmac_f16_e32 v51, 0.5, v54
	v_add_f16_e32 v74, v31, v38
	v_fmac_f16_e32 v67, 0.5, v59
	v_sub_f16_e32 v31, v31, v38
	v_add_f16_e32 v38, v16, v63
	v_fmac_f16_e32 v57, 0x3aee, v73
	v_add_f16_e32 v54, v69, v32
	v_fmac_f16_e32 v72, 0xbaee, v79
	v_add_f16_e32 v59, v71, v51
	v_add_f16_e32 v76, v52, v67
	v_sub_f16_e32 v32, v69, v32
	v_add_f16_e32 v69, v63, v36
	v_sub_f16_e32 v51, v71, v51
	v_sub_f16_e32 v52, v52, v67
	v_add_f16_e32 v67, v34, v55
	v_add_f16_e32 v38, v38, v36
	;; [unrolled: 1-line block ×3, first 2 shown]
	v_sub_f16_e32 v36, v63, v36
	v_add_f16_e32 v63, v89, v37
	v_add_f16_e32 v73, v15, v57
	;; [unrolled: 1-line block ×3, first 2 shown]
	v_sub_f16_e32 v15, v15, v57
	v_fmac_f16_e32 v16, -0.5, v69
	v_sub_f16_e32 v57, v34, v55
	v_sub_f16_e32 v61, v61, v72
	v_add_f16_e32 v34, v75, v34
	v_fmac_f16_e32 v75, -0.5, v67
	v_add_f16_e32 v67, v47, v35
	v_fmac_f16_e32 v47, -0.5, v71
	v_sub_f16_e32 v71, v89, v37
	v_add_f16_e32 v72, v33, v89
	v_fmac_f16_e32 v33, -0.5, v63
	v_sub_f16_e32 v35, v35, v48
	v_fmamk_f16 v69, v57, 0x3aee, v16
	v_fmac_f16_e32 v16, 0xbaee, v57
	v_fmamk_f16 v57, v71, 0x3aee, v47
	v_fmac_f16_e32 v47, 0xbaee, v71
	;; [unrolled: 2-line block ×3, first 2 shown]
	v_add_f16_e32 v34, v34, v55
	v_fmamk_f16 v55, v36, 0xbaee, v75
	v_fmac_f16_e32 v75, 0x3aee, v36
	v_add_f16_e32 v36, v67, v48
	v_mul_f16_e32 v48, -0.5, v47
	v_mul_f16_e32 v67, 0xbaee, v57
	v_mul_f16_e32 v71, -0.5, v33
	v_mul_f16_e32 v35, 0x3aee, v63
	v_add_f16_e32 v37, v72, v37
	v_fmac_f16_e32 v48, 0x3aee, v33
	v_fmac_f16_e32 v67, 0.5, v63
	v_fmac_f16_e32 v71, 0xbaee, v47
	v_fmac_f16_e32 v35, 0.5, v57
	v_add_f16_e32 v33, v38, v36
	v_add_f16_e32 v57, v16, v48
	;; [unrolled: 1-line block ×5, first 2 shown]
	v_sub_f16_e32 v36, v38, v36
	v_add_f16_e32 v38, v60, v56
	v_sub_f16_e32 v16, v16, v48
	v_sub_f16_e32 v34, v34, v37
	v_add_f16_e32 v37, v11, v60
	v_sub_f16_e32 v48, v55, v67
	v_sub_f16_e32 v55, v75, v71
	v_add_f16_e32 v67, v58, v53
	v_add_f16_e32 v71, v39, v41
	v_fmac_f16_e32 v11, -0.5, v38
	v_sub_f16_e32 v38, v58, v53
	v_add_f16_e32 v37, v37, v56
	v_add_f16_e32 v58, v77, v58
	v_fmac_f16_e32 v77, -0.5, v67
	;; [unrolled: 4-line block ×3, first 2 shown]
	v_sub_f16_e32 v71, v40, v62
	v_add_f16_e32 v47, v69, v35
	v_sub_f16_e32 v35, v69, v35
	v_fmamk_f16 v69, v38, 0x3aee, v11
	v_add_f16_e32 v40, v70, v40
	v_fmac_f16_e32 v70, -0.5, v60
	v_sub_f16_e32 v39, v39, v41
	v_fmac_f16_e32 v11, 0xbaee, v38
	v_add_f16_e32 v38, v58, v53
	v_fmamk_f16 v58, v71, 0x3aee, v49
	v_fmac_f16_e32 v49, 0xbaee, v71
	v_fmamk_f16 v53, v56, 0xbaee, v77
	v_fmamk_f16 v60, v39, 0xbaee, v70
	v_fmac_f16_e32 v77, 0x3aee, v56
	v_fmac_f16_e32 v70, 0x3aee, v39
	v_mul_f16_e32 v56, -0.5, v49
	v_add_f16_e32 v40, v40, v62
	v_mul_f16_e32 v62, 0xbaee, v58
	v_add_f16_e32 v41, v67, v41
	v_mul_f16_e32 v39, 0x3aee, v60
	v_fmac_f16_e32 v56, 0x3aee, v70
	v_mul_f16_e32 v67, -0.5, v70
	v_fmac_f16_e32 v62, 0.5, v60
	v_add_f16_e32 v70, v38, v40
	v_fmac_f16_e32 v39, 0.5, v58
	v_add_f16_e32 v58, v37, v41
	v_add_f16_e32 v60, v11, v56
	;; [unrolled: 1-line block ×3, first 2 shown]
	v_sub_f16_e32 v37, v37, v41
	v_add_f16_e32 v41, v65, v45
	v_sub_f16_e32 v11, v11, v56
	v_sub_f16_e32 v56, v53, v62
	v_add_f16_e32 v53, v50, v66
	v_fmac_f16_e32 v67, 0xbaee, v49
	v_add_f16_e32 v49, v69, v39
	v_sub_f16_e32 v39, v69, v39
	v_sub_f16_e32 v38, v38, v40
	v_add_f16_e32 v40, v9, v65
	v_fmac_f16_e32 v9, -0.5, v41
	v_sub_f16_e32 v41, v50, v66
	v_add_f16_e32 v50, v17, v50
	v_add_f16_e32 v69, v43, v46
	v_fmac_f16_e32 v17, -0.5, v53
	v_add_f16_e32 v53, v44, v68
	v_add_f16_e32 v40, v40, v45
	v_sub_f16_e32 v45, v65, v45
	v_add_f16_e32 v65, v64, v43
	v_fmac_f16_e32 v64, -0.5, v69
	v_sub_f16_e32 v69, v44, v68
	v_add_f16_e32 v44, v42, v44
	v_fmac_f16_e32 v42, -0.5, v53
	v_sub_f16_e32 v43, v43, v46
	v_add_f16_e32 v75, v77, v67
	v_sub_f16_e32 v62, v77, v67
	v_fmamk_f16 v67, v41, 0x3aee, v9
	v_fmac_f16_e32 v9, 0xbaee, v41
	v_add_f16_e32 v41, v50, v66
	v_fmamk_f16 v53, v69, 0x3aee, v64
	v_fmamk_f16 v66, v43, 0xbaee, v42
	v_fmac_f16_e32 v64, 0xbaee, v69
	v_fmac_f16_e32 v42, 0x3aee, v43
	v_fmamk_f16 v50, v45, 0xbaee, v17
	v_fmac_f16_e32 v17, 0x3aee, v45
	v_add_f16_e32 v45, v65, v46
	v_mul_f16_e32 v43, 0x3aee, v66
	v_mul_f16_e32 v46, -0.5, v64
	v_add_f16_e32 v44, v44, v68
	v_mul_f16_e32 v65, 0xbaee, v53
	v_mul_f16_e32 v68, -0.5, v42
	v_fmac_f16_e32 v43, 0.5, v53
	v_fmac_f16_e32 v46, 0x3aee, v42
	v_add_f16_e32 v42, v40, v45
	v_fmac_f16_e32 v65, 0.5, v66
	v_fmac_f16_e32 v68, 0xbaee, v64
	v_add_f16_e32 v53, v67, v43
	v_add_f16_e32 v64, v9, v46
	v_sub_f16_e32 v43, v67, v43
	v_sub_f16_e32 v9, v9, v46
	v_add_f16_e32 v66, v41, v44
	v_add_f16_e32 v69, v50, v65
	;; [unrolled: 1-line block ×3, first 2 shown]
	v_sub_f16_e32 v40, v40, v45
	v_sub_f16_e32 v41, v41, v44
	;; [unrolled: 1-line block ×4, first 2 shown]
	global_wb scope:SCOPE_SE
	s_barrier_signal -1
	s_barrier_wait -1
	global_inv scope:SCOPE_SE
	ds_store_b16 v7, v54
	ds_store_b16 v7, v59 offset:72
	ds_store_b16 v7, v73 offset:144
	ds_store_b16 v7, v32 offset:216
	ds_store_b16 v7, v51 offset:288
	ds_store_b16 v7, v15 offset:360
	ds_store_b16 v1, v33
	ds_store_b16 v1, v47 offset:72
	ds_store_b16 v1, v57 offset:144
	ds_store_b16 v1, v36 offset:216
	ds_store_b16 v1, v35 offset:288
	ds_store_b16 v1, v16 offset:360
	;; [unrolled: 6-line block ×4, first 2 shown]
	global_wb scope:SCOPE_SE
	s_wait_dscnt 0x0
	s_barrier_signal -1
	s_barrier_wait -1
	global_inv scope:SCOPE_SE
	ds_load_u16 v43, v29 offset:5760
	ds_load_u16 v9, v6
	ds_load_u16 v45, v29
	ds_load_u16 v46, v29 offset:1728
	ds_load_u16 v47, v29 offset:2016
	;; [unrolled: 1-line block ×5, first 2 shown]
	v_lshl_add_u32 v53, v4, 1, 0
	ds_load_u16 v54, v29 offset:3744
	ds_load_u16 v57, v29 offset:4032
	;; [unrolled: 1-line block ×11, first 2 shown]
	ds_load_u16 v81, v5
	ds_load_u16 v82, v2
	;; [unrolled: 1-line block ×4, first 2 shown]
	ds_load_u16 v83, v29 offset:6624
	global_wb scope:SCOPE_SE
	s_wait_dscnt 0x0
	s_barrier_signal -1
	s_barrier_wait -1
	global_inv scope:SCOPE_SE
	ds_store_b16 v7, v74
	ds_store_b16 v7, v76 offset:72
	ds_store_b16 v7, v78 offset:144
	ds_store_b16 v7, v31 offset:216
	ds_store_b16 v7, v52 offset:288
	ds_store_b16 v7, v61 offset:360
	ds_store_b16 v1, v63
	ds_store_b16 v1, v72 offset:72
	ds_store_b16 v1, v79 offset:144
	ds_store_b16 v1, v34 offset:216
	ds_store_b16 v1, v48 offset:288
	ds_store_b16 v1, v55 offset:360
	;; [unrolled: 6-line block ×3, first 2 shown]
	v_add_nc_u32_e32 v0, 0xffffffb8, v22
	v_mul_u32_u24_e32 v1, 3, v22
	ds_store_b16 v12, v66
	ds_store_b16 v12, v69 offset:72
	ds_store_b16 v12, v77 offset:144
	ds_store_b16 v12, v41 offset:216
	ds_store_b16 v12, v44 offset:288
	ds_store_b16 v12, v17 offset:360
	v_lshrrev_b16 v16, 3, v25
	global_wb scope:SCOPE_SE
	s_wait_dscnt 0x0
	s_wait_alu 0xf1ff
	v_cndmask_b32_e64 v17, v0, v23, s0
	v_lshlrev_b32_e32 v7, 2, v1
	v_mov_b32_e32 v1, 0
	s_barrier_signal -1
	s_barrier_wait -1
	v_mul_i32_i24_e32 v0, 3, v17
	global_inv scope:SCOPE_SE
	global_load_b96 v[11:13], v7, s[8:9] offset:840
	v_lshrrev_b16 v31, 3, v3
	v_lshrrev_b16 v35, 3, v4
	v_lshlrev_b64_e32 v[14:15], 2, v[0:1]
	v_and_b32_e32 v0, 0xffff, v16
	v_lshlrev_b32_e32 v17, 1, v17
	v_and_b32_e32 v31, 0xffff, v31
	v_and_b32_e32 v35, 0xffff, v35
	s_delay_alu instid0(VALU_DEP_4) | instskip(SKIP_3) | instid1(VALU_DEP_3)
	v_mul_u32_u24_e32 v0, 0x12f7, v0
	v_add_co_u32 v14, s0, s8, v14
	s_wait_alu 0xf1ff
	v_add_co_ci_u32_e64 v15, s0, s9, v15, s0
	v_lshrrev_b32_e32 v0, 17, v0
	v_mul_u32_u24_e32 v34, 0x12f7, v31
	s_clause 0x1
	global_load_b96 v[31:33], v7, s[8:9] offset:1704
	global_load_b96 v[14:16], v[14:15], off offset:840
	v_mul_u32_u24_e32 v37, 0x12f7, v35
	v_mul_lo_u16 v0, 0xd8, v0
	v_lshrrev_b32_e32 v44, 17, v34
	v_cmp_lt_u32_e64 s0, 0x47, v22
	s_delay_alu instid0(VALU_DEP_4) | instskip(NEXT) | instid1(VALU_DEP_4)
	v_lshrrev_b32_e32 v37, 17, v37
	v_sub_nc_u16 v0, v25, v0
	s_delay_alu instid0(VALU_DEP_4) | instskip(NEXT) | instid1(VALU_DEP_3)
	v_mul_lo_u16 v36, 0xd8, v44
	v_mul_lo_u16 v37, 0xd8, v37
	s_delay_alu instid0(VALU_DEP_3) | instskip(NEXT) | instid1(VALU_DEP_3)
	v_and_b32_e32 v0, 0xffff, v0
	v_sub_nc_u16 v38, v3, v36
	s_delay_alu instid0(VALU_DEP_3) | instskip(NEXT) | instid1(VALU_DEP_3)
	v_sub_nc_u16 v37, v4, v37
	v_mul_u32_u24_e32 v34, 3, v0
	s_delay_alu instid0(VALU_DEP_3) | instskip(SKIP_1) | instid1(VALU_DEP_4)
	v_and_b32_e32 v48, 0xffff, v38
	v_lshl_add_u32 v0, v0, 1, 0
	v_and_b32_e32 v52, 0xffff, v37
	s_delay_alu instid0(VALU_DEP_4) | instskip(NEXT) | instid1(VALU_DEP_4)
	v_lshlrev_b32_e32 v34, 2, v34
	v_mul_u32_u24_e32 v38, 3, v48
	s_delay_alu instid0(VALU_DEP_3)
	v_mul_u32_u24_e32 v40, 3, v52
	global_load_b96 v[34:36], v34, s[8:9] offset:840
	v_lshlrev_b32_e32 v38, 2, v38
	v_lshlrev_b32_e32 v40, 2, v40
	s_clause 0x1
	global_load_b96 v[37:39], v38, s[8:9] offset:840
	global_load_b96 v[40:42], v40, s[8:9] offset:840
	ds_load_u16 v55, v29 offset:1728
	ds_load_u16 v56, v29 offset:3456
	;; [unrolled: 1-line block ×8, first 2 shown]
	ds_load_u16 v72, v29
	ds_load_u16 v74, v29 offset:5472
	ds_load_u16 v75, v29 offset:5760
	ds_load_u16 v76, v6
	ds_load_u16 v79, v29 offset:3744
	ds_load_u16 v84, v29 offset:4032
	;; [unrolled: 1-line block ×4, first 2 shown]
	s_wait_loadcnt 0x5
	v_lshrrev_b32_e32 v62, 16, v11
	v_lshrrev_b32_e32 v78, 16, v12
	;; [unrolled: 1-line block ×3, first 2 shown]
	s_wait_dscnt 0xf
	s_delay_alu instid0(VALU_DEP_3) | instskip(SKIP_1) | instid1(VALU_DEP_2)
	v_mul_f16_e32 v77, v55, v62
	v_mul_f16_e32 v62, v46, v62
	v_fma_f16 v46, v46, v11, -v77
	s_wait_dscnt 0xe
	v_mul_f16_e32 v77, v56, v78
	s_delay_alu instid0(VALU_DEP_3)
	v_fmac_f16_e32 v62, v55, v11
	v_mul_f16_e32 v11, v65, v78
	s_wait_dscnt 0xd
	v_mul_f16_e32 v78, v61, v87
	v_mul_f16_e32 v87, v73, v87
	v_fma_f16 v65, v65, v12, -v77
	s_wait_loadcnt 0x3
	v_lshrrev_b32_e32 v88, 16, v14
	v_fmac_f16_e32 v11, v56, v12
	v_fma_f16 v12, v73, v13, -v78
	v_fmac_f16_e32 v87, v61, v13
	v_lshrrev_b32_e32 v56, 16, v15
	s_wait_dscnt 0xc
	v_mul_f16_e32 v13, v63, v88
	v_mul_f16_e32 v61, v47, v88
	v_lshrrev_b32_e32 v78, 16, v16
	ds_load_u16 v55, v29 offset:4896
	ds_load_u16 v73, v29 offset:6048
	;; [unrolled: 1-line block ×3, first 2 shown]
	v_fma_f16 v13, v47, v14, -v13
	s_wait_dscnt 0x6
	v_mul_f16_e32 v47, v79, v56
	v_fmac_f16_e32 v61, v63, v14
	v_mul_f16_e32 v14, v54, v56
	v_mul_f16_e32 v56, v74, v78
	v_lshrrev_b32_e32 v63, 16, v31
	v_fma_f16 v47, v54, v15, -v47
	v_mul_f16_e32 v54, v68, v78
	v_fmac_f16_e32 v14, v79, v15
	v_fma_f16 v15, v68, v16, -v56
	v_mul_f16_e32 v56, v66, v63
	v_lshrrev_b32_e32 v68, 16, v32
	v_fmac_f16_e32 v54, v74, v16
	v_mul_f16_e32 v16, v49, v63
	v_lshrrev_b32_e32 v63, 16, v33
	v_fma_f16 v49, v49, v31, -v56
	s_wait_dscnt 0x5
	v_mul_f16_e32 v56, v84, v68
	v_mul_f16_e32 v68, v57, v68
	v_fmac_f16_e32 v16, v66, v31
	v_mul_f16_e32 v31, v75, v63
	s_wait_loadcnt 0x2
	v_lshrrev_b32_e32 v66, 16, v34
	v_mul_f16_e32 v63, v43, v63
	v_fma_f16 v56, v57, v32, -v56
	v_fmac_f16_e32 v68, v84, v32
	v_fma_f16 v31, v43, v33, -v31
	v_mul_f16_e32 v32, v69, v66
	v_fmac_f16_e32 v63, v75, v33
	v_lshrrev_b32_e32 v33, 16, v35
	v_mul_f16_e32 v43, v50, v66
	v_lshrrev_b32_e32 v79, 16, v36
	v_fma_f16 v32, v50, v34, -v32
	ds_load_u16 v57, v5
	ds_load_u16 v66, v2
	;; [unrolled: 1-line block ×4, first 2 shown]
	ds_load_u16 v78, v29 offset:6624
	s_wait_dscnt 0x9
	v_mul_f16_e32 v50, v85, v33
	v_fmac_f16_e32 v43, v69, v34
	v_mul_f16_e32 v33, v58, v33
	s_wait_dscnt 0x6
	v_mul_f16_e32 v34, v73, v79
	s_wait_loadcnt 0x1
	v_lshrrev_b32_e32 v69, 16, v37
	v_fma_f16 v50, v58, v35, -v50
	v_mul_f16_e32 v58, v60, v79
	v_fmac_f16_e32 v33, v85, v35
	v_fma_f16 v34, v60, v36, -v34
	v_mul_f16_e32 v35, v70, v69
	v_lshrrev_b32_e32 v60, 16, v38
	v_fmac_f16_e32 v58, v73, v36
	v_mul_f16_e32 v36, v51, v69
	v_lshrrev_b32_e32 v69, 16, v39
	v_fma_f16 v35, v51, v37, -v35
	v_mul_f16_e32 v51, v86, v60
	v_mul_f16_e32 v60, v59, v60
	v_fmac_f16_e32 v36, v70, v37
	s_wait_dscnt 0x5
	v_mul_f16_e32 v37, v77, v69
	s_wait_loadcnt 0x0
	v_lshrrev_b32_e32 v70, 16, v40
	v_fma_f16 v51, v59, v38, -v51
	v_fmac_f16_e32 v60, v86, v38
	v_mul_f16_e32 v38, v64, v69
	v_sub_f16_e32 v65, v45, v65
	v_sub_f16_e32 v12, v46, v12
	v_fma_f16 v37, v64, v39, -v37
	v_mul_f16_e32 v59, v71, v70
	v_mul_f16_e32 v64, v67, v70
	v_lshrrev_b32_e32 v69, 16, v41
	v_fmac_f16_e32 v38, v77, v39
	v_lshrrev_b32_e32 v39, 16, v42
	v_fma_f16 v45, v45, 2.0, -v65
	v_fma_f16 v46, v46, 2.0, -v12
	v_fma_f16 v59, v67, v40, -v59
	v_fmac_f16_e32 v64, v71, v40
	v_mul_f16_e32 v40, v55, v69
	v_sub_f16_e32 v67, v62, v87
	v_mul_f16_e32 v69, v80, v69
	s_wait_dscnt 0x0
	v_mul_f16_e32 v71, v78, v39
	v_mul_f16_e32 v39, v83, v39
	v_sub_f16_e32 v46, v45, v46
	v_fma_f16 v40, v80, v41, -v40
	v_fma_f16 v62, v62, 2.0, -v67
	v_fmac_f16_e32 v69, v55, v41
	v_fma_f16 v41, v83, v42, -v71
	v_fmac_f16_e32 v39, v78, v42
	v_fma_f16 v42, v45, 2.0, -v46
	v_sub_f16_e32 v45, v82, v47
	v_sub_f16_e32 v47, v65, v67
	;; [unrolled: 1-line block ×8, first 2 shown]
	v_fma_f16 v49, v49, 2.0, -v31
	v_add_f16_e32 v71, v67, v31
	v_fma_f16 v31, v76, 2.0, -v33
	v_fma_f16 v43, v43, 2.0, -v58
	;; [unrolled: 1-line block ×3, first 2 shown]
	v_sub_f16_e32 v38, v36, v38
	v_fma_f16 v32, v32, 2.0, -v34
	v_sub_f16_e32 v15, v13, v15
	v_sub_f16_e32 v72, v31, v43
	;; [unrolled: 1-line block ×3, first 2 shown]
	v_add_f16_e32 v60, v33, v34
	v_fma_f16 v36, v36, 2.0, -v38
	v_fma_f16 v55, v82, 2.0, -v45
	;; [unrolled: 1-line block ×5, first 2 shown]
	v_sub_f16_e32 v33, v8, v40
	v_sub_f16_e32 v40, v59, v41
	;; [unrolled: 1-line block ×9, first 2 shown]
	v_fma_f16 v41, v74, 2.0, -v36
	v_add_f16_e32 v74, v36, v40
	v_sub_f16_e32 v37, v35, v37
	v_fma_f16 v61, v61, 2.0, -v54
	v_sub_f16_e32 v54, v45, v54
	v_fma_f16 v68, v81, 2.0, -v56
	v_fma_f16 v79, v36, 2.0, -v74
	s_wait_alu 0xf1ff
	v_cndmask_b32_e64 v36, 0, 0x6c0, s0
	v_fma_f16 v9, v9, 2.0, -v50
	v_sub_f16_e32 v58, v50, v58
	v_sub_f16_e32 v63, v16, v63
	v_fma_f16 v55, v55, 2.0, -v13
	v_fma_f16 v10, v10, 2.0, -v51
	;; [unrolled: 1-line block ×3, first 2 shown]
	v_sub_f16_e32 v39, v64, v39
	v_add3_u32 v17, 0, v36, v17
	v_fma_f16 v65, v65, 2.0, -v47
	v_fma_f16 v45, v45, 2.0, -v54
	v_sub_f16_e32 v49, v68, v49
	v_sub_f16_e32 v32, v9, v32
	v_fma_f16 v73, v31, 2.0, -v72
	v_fma_f16 v31, v50, 2.0, -v58
	;; [unrolled: 1-line block ×5, first 2 shown]
	v_sub_f16_e32 v63, v56, v63
	v_sub_f16_e32 v35, v10, v35
	v_fma_f16 v59, v64, 2.0, -v39
	global_wb scope:SCOPE_SE
	s_barrier_signal -1
	s_barrier_wait -1
	global_inv scope:SCOPE_SE
	ds_store_b16 v29, v42
	ds_store_b16 v29, v65 offset:432
	ds_store_b16 v29, v46 offset:864
	ds_store_b16 v29, v47 offset:1296
	ds_store_b16 v17, v55
	ds_store_b16 v17, v45 offset:432
	ds_store_b16 v17, v13 offset:864
	ds_store_b16 v17, v54 offset:1296
	v_mul_u32_u24_e32 v13, 0x6c0, v44
	v_lshlrev_b32_e32 v36, 1, v48
	v_sub_f16_e32 v38, v51, v38
	v_fma_f16 v68, v68, 2.0, -v49
	v_fma_f16 v9, v9, 2.0, -v32
	v_add_f16_e32 v69, v43, v37
	v_sub_f16_e32 v37, v8, v50
	v_sub_f16_e32 v39, v33, v39
	v_lshl_add_u32 v65, v22, 1, 0
	v_fma_f16 v56, v56, 2.0, -v63
	v_fma_f16 v10, v10, 2.0, -v35
	v_sub_f16_e32 v59, v41, v59
	v_add3_u32 v13, 0, v13, v36
	v_fma_f16 v64, v34, 2.0, -v76
	v_fma_f16 v34, v51, 2.0, -v38
	;; [unrolled: 1-line block ×4, first 2 shown]
	ds_store_b16 v65, v68 offset:1872
	ds_store_b16 v65, v56 offset:2304
	;; [unrolled: 1-line block ×8, first 2 shown]
	v_lshl_add_u32 v9, v52, 1, 0
	v_fma_f16 v77, v43, 2.0, -v69
	v_fma_f16 v78, v41, 2.0, -v59
	ds_store_b16 v13, v10
	ds_store_b16 v13, v34 offset:432
	ds_store_b16 v13, v35 offset:864
	;; [unrolled: 1-line block ×7, first 2 shown]
	global_wb scope:SCOPE_SE
	s_wait_dscnt 0x0
	s_barrier_signal -1
	s_barrier_wait -1
	global_inv scope:SCOPE_SE
	ds_load_u16 v37, v29 offset:5760
	ds_load_u16 v33, v6
	ds_load_u16 v48, v29
	ds_load_u16 v52, v29 offset:1728
	ds_load_u16 v31, v29 offset:2016
	ds_load_u16 v38, v29 offset:2304
	ds_load_u16 v41, v29 offset:2592
	ds_load_u16 v45, v29 offset:2880
	ds_load_u16 v35, v29 offset:3744
	ds_load_u16 v39, v29 offset:4032
	ds_load_u16 v42, v29 offset:4320
	ds_load_u16 v46, v29 offset:4608
	ds_load_u16 v43, v29 offset:6048
	ds_load_u16 v47, v29 offset:6336
	ds_load_u16 v54, v29 offset:3456
	ds_load_u16 v49, v29 offset:3168
	ds_load_u16 v36, v29 offset:5472
	ds_load_u16 v55, v29 offset:5184
	ds_load_u16 v50, v29 offset:4896
	ds_load_u16 v34, v5
	ds_load_u16 v32, v2
	;; [unrolled: 1-line block ×4, first 2 shown]
	ds_load_u16 v51, v29 offset:6624
	v_sub_f16_e32 v14, v66, v14
	v_sub_f16_e32 v62, v70, v62
	v_fma_f16 v57, v57, 2.0, -v67
	v_add_f16_e32 v12, v11, v12
	v_fma_f16 v67, v67, 2.0, -v71
	v_fma_f16 v66, v66, 2.0, -v14
	;; [unrolled: 1-line block ×3, first 2 shown]
	v_add_f16_e32 v15, v14, v15
	v_sub_f16_e32 v16, v57, v16
	v_fma_f16 v11, v11, 2.0, -v12
	v_sub_f16_e32 v61, v66, v61
	global_wb scope:SCOPE_SE
	s_wait_dscnt 0x0
	v_fma_f16 v14, v14, 2.0, -v15
	v_fma_f16 v57, v57, 2.0, -v16
	s_barrier_signal -1
	v_fma_f16 v66, v66, 2.0, -v61
	s_barrier_wait -1
	global_inv scope:SCOPE_SE
	ds_store_b16 v29, v70
	ds_store_b16 v29, v11 offset:432
	ds_store_b16 v29, v62 offset:864
	;; [unrolled: 1-line block ×3, first 2 shown]
	ds_store_b16 v17, v66
	ds_store_b16 v17, v14 offset:432
	ds_store_b16 v17, v61 offset:864
	;; [unrolled: 1-line block ×11, first 2 shown]
	ds_store_b16 v13, v64
	ds_store_b16 v13, v77 offset:432
	ds_store_b16 v13, v76 offset:864
	;; [unrolled: 1-line block ×7, first 2 shown]
	global_wb scope:SCOPE_SE
	s_wait_dscnt 0x0
	s_barrier_signal -1
	s_barrier_wait -1
	global_inv scope:SCOPE_SE
	s_and_saveexec_b32 s0, vcc_lo
	s_cbranch_execz .LBB0_15
; %bb.14:
	v_add_co_u32 v5, s0, s8, v7
	s_wait_alu 0xf1fe
	v_add_co_ci_u32_e64 v6, null, s9, 0, s0
	v_mul_i32_i24_e32 v0, 3, v4
	v_add_nc_u32_e32 v68, 0x90, v22
	v_mul_lo_u32 v60, s3, v20
	global_load_b96 v[15:17], v[5:6], off offset:3432
	v_mul_lo_u32 v61, s2, v21
	v_lshlrev_b64_e32 v[4:5], 2, v[0:1]
	v_mul_i32_i24_e32 v0, 3, v3
	v_mad_co_u64_u32 v[20:21], null, s2, v20, 0
	v_mul_i32_i24_e32 v58, -10, v23
	v_mul_i32_i24_e32 v59, -10, v24
	s_delay_alu instid0(VALU_DEP_4) | instskip(SKIP_4) | instid1(VALU_DEP_4)
	v_lshlrev_b64_e32 v[2:3], 2, v[0:1]
	v_add_co_u32 v4, vcc_lo, s8, v4
	s_wait_alu 0xfffd
	v_add_co_ci_u32_e32 v5, vcc_lo, s9, v5, vcc_lo
	v_mul_i32_i24_e32 v0, 3, v25
	v_add_co_u32 v2, vcc_lo, s8, v2
	s_wait_alu 0xfffd
	v_add_co_ci_u32_e32 v3, vcc_lo, s9, v3, vcc_lo
	global_load_b96 v[12:14], v[4:5], off offset:3432
	v_mul_i32_i24_e32 v62, -10, v25
	v_lshrrev_b32_e32 v67, 5, v22
	global_load_b96 v[9:11], v[2:3], off offset:3432
	v_lshlrev_b64_e32 v[2:3], 2, v[0:1]
	v_mul_i32_i24_e32 v0, 3, v24
	v_lshlrev_b64_e32 v[65:66], 2, v[18:19]
	v_mul_hi_u32 v19, 0x97b425f, v67
	v_add3_u32 v21, v21, v61, v60
	v_add_nc_u32_e32 v69, 0x120, v22
	v_add_co_u32 v2, vcc_lo, s8, v2
	s_wait_alu 0xfffd
	v_add_co_ci_u32_e32 v3, vcc_lo, s9, v3, vcc_lo
	s_delay_alu instid0(VALU_DEP_3)
	v_lshrrev_b32_e32 v67, 5, v69
	v_add_nc_u32_e32 v28, v28, v62
	v_add_nc_u32_e32 v26, v26, v58
	global_load_b96 v[6:8], v[2:3], off offset:3432
	v_lshlrev_b64_e32 v[2:3], 2, v[0:1]
	v_mul_i32_i24_e32 v0, 3, v23
	v_mul_hi_u32 v62, 0x97b425f, v67
	s_delay_alu instid0(VALU_DEP_2) | instskip(NEXT) | instid1(VALU_DEP_4)
	v_lshlrev_b64_e32 v[0:1], 2, v[0:1]
	v_add_co_u32 v2, vcc_lo, s8, v2
	s_wait_alu 0xfffd
	v_add_co_ci_u32_e32 v3, vcc_lo, s9, v3, vcc_lo
	s_delay_alu instid0(VALU_DEP_3)
	v_add_co_u32 v0, vcc_lo, s8, v0
	global_load_b96 v[3:5], v[2:3], off offset:3432
	s_wait_alu 0xfffd
	v_add_co_ci_u32_e32 v1, vcc_lo, s9, v1, vcc_lo
	global_load_b96 v[0:2], v[0:1], off offset:3432
	ds_load_u16 v24, v53
	ds_load_u16 v23, v30
	ds_load_u16 v53, v29 offset:6624
	ds_load_u16 v30, v29 offset:6336
	;; [unrolled: 1-line block ×18, first 2 shown]
	ds_load_u16 v92, v29
	v_lshrrev_b32_e32 v29, 5, v68
	s_delay_alu instid0(VALU_DEP_1) | instskip(SKIP_2) | instid1(VALU_DEP_2)
	v_mul_hi_u32 v60, 0x97b425f, v29
	v_mul_u32_u24_e32 v29, 0x360, v19
	v_lshlrev_b64_e32 v[19:20], 2, v[20:21]
	v_sub_nc_u32_e32 v70, v22, v29
	s_delay_alu instid0(VALU_DEP_4) | instskip(NEXT) | instid1(VALU_DEP_3)
	v_mul_u32_u24_e32 v21, 0x360, v60
	v_add_co_u32 v19, vcc_lo, s6, v19
	s_wait_alu 0xfffd
	s_delay_alu instid0(VALU_DEP_4) | instskip(NEXT) | instid1(VALU_DEP_3)
	v_add_co_ci_u32_e32 v20, vcc_lo, s7, v20, vcc_lo
	v_sub_nc_u32_e32 v21, v68, v21
	s_delay_alu instid0(VALU_DEP_3) | instskip(SKIP_1) | instid1(VALU_DEP_3)
	v_add_co_u32 v19, vcc_lo, v19, v65
	s_wait_alu 0xfffd
	v_add_co_ci_u32_e32 v20, vcc_lo, v20, v66, vcc_lo
	s_delay_alu instid0(VALU_DEP_3) | instskip(SKIP_1) | instid1(VALU_DEP_2)
	v_mad_u32_u24 v81, 0xd80, v60, v21
	v_add_nc_u32_e32 v79, 0x6c0, v70
	v_add_nc_u32_e32 v98, 0x6c0, v81
	v_mad_co_u64_u32 v[65:66], null, s16, v81, 0
	v_add_nc_u32_e32 v80, 0xa20, v70
	v_add_nc_u32_e32 v97, 0x360, v81
	s_delay_alu instid0(VALU_DEP_4)
	v_mad_co_u64_u32 v[72:73], null, s16, v98, 0
	v_add_nc_u32_e32 v27, v27, v59
	ds_load_u16 v93, v28
	ds_load_u16 v94, v27
	v_mul_u32_u24_e32 v28, 0x360, v62
	v_mad_co_u64_u32 v[60:61], null, s16, v80, 0
	v_add_nc_u32_e32 v78, 0x360, v70
	ds_load_u16 v95, v26
	v_mad_co_u64_u32 v[26:27], null, s16, v70, 0
	v_sub_nc_u32_e32 v67, v69, v28
	v_mad_co_u64_u32 v[28:29], null, s16, v78, 0
	v_mad_co_u64_u32 v[58:59], null, s16, v79, 0
	s_delay_alu instid0(VALU_DEP_3) | instskip(SKIP_3) | instid1(VALU_DEP_4)
	v_mad_u32_u24 v96, 0xd80, v62, v67
	v_mov_b32_e32 v21, v27
	v_add_nc_u32_e32 v99, 0xa20, v81
	v_mov_b32_e32 v27, v29
	v_mad_co_u64_u32 v[67:68], null, s16, v96, 0
	s_delay_alu instid0(VALU_DEP_4) | instskip(SKIP_4) | instid1(VALU_DEP_4)
	v_mad_co_u64_u32 v[69:70], null, s17, v70, v[21:22]
	v_mov_b32_e32 v21, v59
	v_mov_b32_e32 v29, v61
	v_mad_co_u64_u32 v[70:71], null, s16, v97, 0
	v_mad_co_u64_u32 v[61:62], null, s17, v78, v[27:28]
	;; [unrolled: 1-line block ×3, first 2 shown]
	v_mov_b32_e32 v21, v66
	s_wait_dscnt 0x14
	v_mad_co_u64_u32 v[79:80], null, s17, v80, v[29:30]
	v_mad_co_u64_u32 v[74:75], null, s16, v99, 0
	v_dual_mov_b32 v27, v69 :: v_dual_add_nc_u32 v100, 0x360, v96
	v_mov_b32_e32 v62, v68
	v_mad_co_u64_u32 v[68:69], null, s17, v81, v[21:22]
	v_mov_b32_e32 v21, v71
	v_dual_mov_b32 v29, v61 :: v_dual_mov_b32 v66, v73
	v_lshlrev_b64_e32 v[26:27], 2, v[26:27]
	v_mov_b32_e32 v59, v78
	v_mov_b32_e32 v61, v79
	v_mad_co_u64_u32 v[78:79], null, s17, v97, v[21:22]
	v_mov_b32_e32 v69, v75
	v_lshlrev_b64_e32 v[28:29], 2, v[28:29]
	v_mad_co_u64_u32 v[79:80], null, s17, v98, v[66:67]
	v_lshlrev_b64_e32 v[58:59], 2, v[58:59]
	v_add_co_u32 v26, vcc_lo, v19, v26
	v_mov_b32_e32 v66, v68
	v_mad_co_u64_u32 v[80:81], null, s17, v99, v[69:70]
	s_wait_alu 0xfffd
	v_add_co_ci_u32_e32 v27, vcc_lo, v20, v27, vcc_lo
	v_lshlrev_b64_e32 v[60:61], 2, v[60:61]
	v_add_co_u32 v28, vcc_lo, v19, v28
	v_mov_b32_e32 v71, v78
	s_wait_alu 0xfffd
	v_add_co_ci_u32_e32 v29, vcc_lo, v20, v29, vcc_lo
	v_lshlrev_b64_e32 v[65:66], 2, v[65:66]
	v_add_co_u32 v58, vcc_lo, v19, v58
	v_mov_b32_e32 v73, v79
	s_wait_alu 0xfffd
	v_add_co_ci_u32_e32 v59, vcc_lo, v20, v59, vcc_lo
	v_add_co_u32 v60, vcc_lo, v19, v60
	v_lshlrev_b64_e32 v[68:69], 2, v[70:71]
	v_mov_b32_e32 v75, v80
	s_wait_alu 0xfffd
	v_add_co_ci_u32_e32 v61, vcc_lo, v20, v61, vcc_lo
	v_lshlrev_b64_e32 v[70:71], 2, v[72:73]
	v_add_co_u32 v65, vcc_lo, v19, v65
	s_wait_alu 0xfffd
	v_add_co_ci_u32_e32 v66, vcc_lo, v20, v66, vcc_lo
	v_lshlrev_b64_e32 v[72:73], 2, v[74:75]
	v_add_co_u32 v74, vcc_lo, v19, v68
	s_wait_alu 0xfffd
	v_add_co_ci_u32_e32 v75, vcc_lo, v20, v69, vcc_lo
	v_add_co_u32 v69, vcc_lo, v19, v70
	s_wait_alu 0xfffd
	v_add_co_ci_u32_e32 v70, vcc_lo, v20, v71, vcc_lo
	;; [unrolled: 3-line block ×3, first 2 shown]
	v_mad_co_u64_u32 v[76:77], null, s16, v100, 0
	s_wait_loadcnt 0x5
	v_lshrrev_b32_e32 v21, 16, v15
	s_wait_dscnt 0x4
	v_mul_f16_e32 v68, v15, v91
	v_lshrrev_b32_e32 v73, 16, v16
	v_lshrrev_b32_e32 v78, 16, v17
	v_mul_f16_e32 v79, v17, v82
	v_mul_f16_e32 v80, v16, v85
	v_fmac_f16_e32 v68, v52, v21
	v_mul_f16_e32 v81, v73, v85
	v_mul_f16_e32 v21, v21, v91
	;; [unrolled: 1-line block ×3, first 2 shown]
	v_fmac_f16_e32 v79, v55, v78
	v_fmac_f16_e32 v80, v54, v73
	v_fma_f16 v16, v54, v16, -v81
	v_fma_f16 v15, v52, v15, -v21
	;; [unrolled: 1-line block ×3, first 2 shown]
	v_sub_f16_e32 v21, v68, v79
	s_wait_dscnt 0x3
	v_sub_f16_e32 v52, v92, v80
	v_sub_f16_e32 v16, v48, v16
	s_wait_loadcnt 0x4
	v_lshrrev_b32_e32 v54, 16, v12
	v_lshrrev_b32_e32 v55, 16, v13
	v_mul_f16_e32 v73, v13, v64
	v_lshrrev_b32_e32 v78, 16, v14
	v_mul_f16_e32 v79, v12, v86
	v_mul_f16_e32 v80, v14, v53
	v_sub_f16_e32 v17, v15, v17
	v_mul_f16_e32 v64, v55, v64
	v_fmac_f16_e32 v73, v50, v55
	v_fmac_f16_e32 v79, v49, v54
	v_mul_f16_e32 v54, v54, v86
	v_fmac_f16_e32 v80, v51, v78
	v_mul_f16_e32 v53, v78, v53
	s_wait_loadcnt 0x3
	v_lshrrev_b32_e32 v55, 16, v10
	v_mul_f16_e32 v78, v10, v63
	v_lshrrev_b32_e32 v82, 16, v9
	v_lshrrev_b32_e32 v85, 16, v11
	v_fma_f16 v68, v68, 2.0, -v21
	v_mul_f16_e32 v86, v9, v87
	v_mul_f16_e32 v91, v11, v30
	v_sub_f16_e32 v21, v16, v21
	v_fma_f16 v15, v15, 2.0, -v17
	v_add_f16_e32 v17, v52, v17
	v_fma_f16 v13, v50, v13, -v64
	v_fma_f16 v12, v49, v12, -v54
	;; [unrolled: 1-line block ×3, first 2 shown]
	v_mul_f16_e32 v49, v55, v63
	v_fmac_f16_e32 v78, v46, v55
	v_mul_f16_e32 v50, v82, v87
	v_mul_f16_e32 v30, v85, v30
	s_wait_loadcnt 0x2
	v_lshrrev_b32_e32 v51, 16, v6
	v_lshrrev_b32_e32 v53, 16, v7
	;; [unrolled: 1-line block ×3, first 2 shown]
	v_mul_f16_e32 v55, v6, v88
	v_mul_f16_e32 v63, v7, v57
	;; [unrolled: 1-line block ×3, first 2 shown]
	v_sub_f16_e32 v80, v79, v80
	v_sub_f16_e32 v73, v24, v73
	v_fma_f16 v81, v92, 2.0, -v52
	v_fma_f16 v48, v48, 2.0, -v16
	v_fmac_f16_e32 v86, v45, v82
	v_fmac_f16_e32 v91, v47, v85
	v_fma_f16 v16, v16, 2.0, -v21
	v_fma_f16 v52, v52, 2.0, -v17
	v_fma_f16 v10, v46, v10, -v49
	v_fma_f16 v9, v45, v9, -v50
	;; [unrolled: 1-line block ×3, first 2 shown]
	v_mul_f16_e32 v30, v53, v57
	v_fmac_f16_e32 v55, v41, v51
	v_fmac_f16_e32 v63, v42, v53
	v_mul_f16_e32 v45, v51, v88
	v_fmac_f16_e32 v64, v43, v54
	v_mul_f16_e32 v25, v54, v25
	v_sub_f16_e32 v14, v12, v14
	v_fma_f16 v24, v24, 2.0, -v73
	v_fma_f16 v46, v79, 2.0, -v80
	v_sub_f16_e32 v49, v23, v78
	s_wait_loadcnt 0x1
	v_lshrrev_b32_e32 v50, 16, v3
	v_lshrrev_b32_e32 v51, 16, v4
	;; [unrolled: 1-line block ×3, first 2 shown]
	v_mul_f16_e32 v54, v3, v89
	v_mul_f16_e32 v57, v5, v56
	;; [unrolled: 1-line block ×3, first 2 shown]
	v_sub_f16_e32 v68, v81, v68
	v_sub_f16_e32 v15, v48, v15
	;; [unrolled: 1-line block ×4, first 2 shown]
	v_pack_b32_f16 v16, v16, v52
	v_fma_f16 v7, v42, v7, -v30
	v_fma_f16 v6, v41, v6, -v45
	v_add_f16_e32 v30, v73, v14
	v_fma_f16 v12, v12, 2.0, -v14
	v_sub_f16_e32 v14, v24, v46
	v_mul_f16_e32 v45, v51, v83
	v_fmac_f16_e32 v54, v38, v50
	v_fmac_f16_e32 v57, v37, v53
	;; [unrolled: 1-line block ×3, first 2 shown]
	v_mul_f16_e32 v46, v50, v89
	v_mul_f16_e32 v50, v53, v56
	s_wait_loadcnt 0x0
	v_lshrrev_b32_e32 v51, 16, v0
	v_lshrrev_b32_e32 v52, 16, v1
	v_lshrrev_b32_e32 v53, 16, v2
	v_pack_b32_f16 v17, v21, v17
	v_fma_f16 v21, v81, 2.0, -v68
	v_fma_f16 v48, v48, 2.0, -v15
	v_fma_f16 v8, v43, v8, -v25
	v_sub_f16_e32 v25, v13, v80
	v_fma_f16 v41, v44, 2.0, -v13
	v_sub_f16_e32 v10, v40, v10
	v_sub_f16_e32 v11, v9, v11
	v_fma_f16 v23, v23, 2.0, -v49
	v_fma_f16 v42, v86, 2.0, -v47
	v_sub_f16_e32 v43, v55, v64
	s_wait_dscnt 0x2
	v_sub_f16_e32 v44, v93, v63
	v_mul_f16_e32 v56, v0, v90
	v_mul_f16_e32 v63, v2, v18
	;; [unrolled: 1-line block ×3, first 2 shown]
	v_fma_f16 v3, v38, v3, -v46
	v_fma_f16 v5, v37, v5, -v50
	v_mul_f16_e32 v37, v52, v84
	v_mul_f16_e32 v38, v51, v90
	;; [unrolled: 1-line block ×3, first 2 shown]
	v_pack_b32_f16 v21, v48, v21
	v_fma_f16 v4, v39, v4, -v45
	v_fma_f16 v39, v13, 2.0, -v25
	v_sub_f16_e32 v48, v41, v12
	v_sub_f16_e32 v13, v10, v47
	v_fma_f16 v9, v9, 2.0, -v11
	v_add_f16_e32 v47, v49, v11
	v_fma_f16 v11, v40, 2.0, -v10
	v_sub_f16_e32 v40, v23, v42
	v_sub_f16_e32 v7, v33, v7
	v_fma_f16 v12, v93, 2.0, -v44
	v_fma_f16 v42, v55, 2.0, -v43
	v_fmac_f16_e32 v56, v31, v51
	v_fmac_f16_e32 v63, v36, v53
	;; [unrolled: 1-line block ×3, first 2 shown]
	v_fma_f16 v1, v35, v1, -v37
	v_fma_f16 v0, v31, v0, -v38
	;; [unrolled: 1-line block ×3, first 2 shown]
	v_pack_b32_f16 v15, v15, v68
	v_sub_f16_e32 v8, v6, v8
	s_clause 0x3
	global_store_b32 v[26:27], v21, off
	global_store_b32 v[28:29], v16, off
	;; [unrolled: 1-line block ×4, first 2 shown]
	v_sub_f16_e32 v21, v11, v9
	v_sub_f16_e32 v26, v7, v43
	v_fma_f16 v9, v33, 2.0, -v7
	v_sub_f16_e32 v28, v12, v42
	v_sub_f16_e32 v29, v56, v63
	s_wait_dscnt 0x0
	v_sub_f16_e32 v33, v95, v64
	v_sub_f16_e32 v1, v32, v1
	;; [unrolled: 1-line block ×5, first 2 shown]
	v_fma_f16 v6, v6, 2.0, -v8
	v_sub_f16_e32 v5, v3, v5
	v_fma_f16 v18, v11, 2.0, -v21
	v_fma_f16 v31, v7, 2.0, -v26
	;; [unrolled: 1-line block ×8, first 2 shown]
	v_sub_f16_e32 v4, v34, v4
	v_sub_f16_e32 v36, v9, v6
	v_add_f16_e32 v41, v57, v5
	v_fma_f16 v3, v3, 2.0, -v5
	v_sub_f16_e32 v5, v7, v11
	v_sub_f16_e32 v0, v12, v0
	v_fma_f16 v6, v34, 2.0, -v4
	v_fma_f16 v34, v9, 2.0, -v36
	;; [unrolled: 1-line block ×5, first 2 shown]
	v_add_f16_e32 v27, v44, v8
	v_fma_f16 v8, v94, 2.0, -v57
	v_fma_f16 v10, v54, 2.0, -v55
	v_sub_f16_e32 v38, v4, v55
	v_pack_b32_f16 v7, v9, v7
	v_add_f16_e32 v2, v33, v2
	v_pack_b32_f16 v12, v0, v5
	v_sub_f16_e32 v32, v8, v10
	v_fma_f16 v10, v4, 2.0, -v38
	v_sub_f16_e32 v4, v1, v29
	global_store_b32 v[65:66], v7, off
	v_add_nc_u32_e32 v7, 0x1b0, v22
	v_sub_f16_e32 v29, v6, v3
	v_fma_f16 v3, v33, 2.0, -v2
	v_fma_f16 v1, v1, 2.0, -v4
	v_add_nc_u32_e32 v33, 0x6c0, v96
	v_lshrrev_b32_e32 v43, 5, v7
	v_pack_b32_f16 v42, v4, v2
	v_fma_f16 v8, v8, 2.0, -v32
	v_pack_b32_f16 v9, v1, v3
	v_mad_co_u64_u32 v[2:3], null, s16, v33, 0
	v_mul_hi_u32 v43, 0x97b425f, v43
	v_mad_co_u64_u32 v[0:1], null, s17, v96, v[62:63]
	v_mov_b32_e32 v1, v77
	s_clause 0x2
	global_store_b32 v[74:75], v9, off
	global_store_b32 v[69:70], v12, off
	;; [unrolled: 1-line block ×3, first 2 shown]
	v_fma_f16 v6, v6, 2.0, -v29
	v_add_nc_u32_e32 v12, 0xa20, v96
	v_fma_f16 v11, v57, 2.0, -v41
	v_mad_co_u64_u32 v[4:5], null, s17, v100, v[1:2]
	v_mul_u32_u24_e32 v9, 0x360, v43
	v_mov_b32_e32 v68, v0
	v_pack_b32_f16 v34, v34, v37
	v_fma_f16 v35, v44, 2.0, -v27
	v_pack_b32_f16 v28, v36, v28
	v_sub_nc_u32_e32 v7, v7, v9
	v_mov_b32_e32 v77, v4
	v_lshlrev_b64_e32 v[0:1], 2, v[67:68]
	v_mad_co_u64_u32 v[3:4], null, s17, v33, v[3:4]
	s_delay_alu instid0(VALU_DEP_4)
	v_mad_u32_u24 v42, 0xd80, v43, v7
	v_pack_b32_f16 v33, v6, v8
	v_lshlrev_b64_e32 v[6:7], 2, v[76:77]
	v_mad_co_u64_u32 v[4:5], null, s16, v12, 0
	v_add_co_u32 v0, vcc_lo, v19, v0
	v_mad_co_u64_u32 v[8:9], null, s16, v42, 0
	s_wait_alu 0xfffd
	v_add_co_ci_u32_e32 v1, vcc_lo, v20, v1, vcc_lo
	v_add_co_u32 v6, vcc_lo, v19, v6
	v_lshlrev_b64_e32 v[2:3], 2, v[2:3]
	v_pack_b32_f16 v43, v10, v11
	s_wait_alu 0xfffd
	v_add_co_ci_u32_e32 v7, vcc_lo, v20, v7, vcc_lo
	v_mad_co_u64_u32 v[10:11], null, s17, v12, v[5:6]
	v_mov_b32_e32 v5, v9
	v_add_co_u32 v2, vcc_lo, v19, v2
	s_wait_alu 0xfffd
	v_add_co_ci_u32_e32 v3, vcc_lo, v20, v3, vcc_lo
	s_delay_alu instid0(VALU_DEP_3)
	v_mad_co_u64_u32 v[11:12], null, s17, v42, v[5:6]
	v_pack_b32_f16 v9, v29, v32
	v_dual_mov_b32 v5, v10 :: v_dual_add_nc_u32 v10, 0x360, v42
	s_clause 0x1
	global_store_b32 v[0:1], v33, off
	global_store_b32 v[6:7], v43, off
	v_add_nc_u32_e32 v33, 0xa20, v42
	global_store_b32 v[2:3], v9, off
	v_mov_b32_e32 v9, v11
	v_mad_co_u64_u32 v[2:3], null, s16, v10, 0
	v_lshlrev_b64_e32 v[0:1], 2, v[4:5]
	v_add_nc_u32_e32 v11, 0x240, v22
	s_delay_alu instid0(VALU_DEP_4)
	v_lshlrev_b64_e32 v[4:5], 2, v[8:9]
	v_add_nc_u32_e32 v29, 0x6c0, v42
	v_pack_b32_f16 v12, v38, v41
	v_add_nc_u32_e32 v22, 0x2d0, v22
	v_lshrrev_b32_e32 v32, 5, v11
	v_add_co_u32 v0, vcc_lo, v19, v0
	v_mad_co_u64_u32 v[8:9], null, s17, v10, v[3:4]
	v_mad_co_u64_u32 v[9:10], null, s16, v33, 0
	s_delay_alu instid0(VALU_DEP_4)
	v_mul_hi_u32 v32, 0x97b425f, v32
	s_wait_alu 0xfffd
	v_add_co_ci_u32_e32 v1, vcc_lo, v20, v1, vcc_lo
	v_mad_co_u64_u32 v[6:7], null, s16, v29, 0
	v_mov_b32_e32 v3, v8
	v_add_co_u32 v4, vcc_lo, v19, v4
	global_store_b32 v[0:1], v12, off
	s_wait_alu 0xfffd
	v_add_co_ci_u32_e32 v5, vcc_lo, v20, v5, vcc_lo
	v_lshlrev_b64_e32 v[1:2], 2, v[2:3]
	v_mov_b32_e32 v0, v10
	v_mul_u32_u24_e32 v38, 0x360, v32
	v_mad_co_u64_u32 v[7:8], null, s17, v29, v[7:8]
	global_store_b32 v[4:5], v34, off
	v_mad_co_u64_u32 v[3:4], null, s17, v33, v[0:1]
	v_sub_nc_u32_e32 v8, v11, v38
	v_add_co_u32 v0, vcc_lo, v19, v1
	s_wait_alu 0xfffd
	v_add_co_ci_u32_e32 v1, vcc_lo, v20, v2, vcc_lo
	s_delay_alu instid0(VALU_DEP_3)
	v_mad_u32_u24 v12, 0xd80, v32, v8
	v_mov_b32_e32 v10, v3
	v_lshlrev_b64_e32 v[2:3], 2, v[6:7]
	v_pack_b32_f16 v29, v31, v35
	v_pack_b32_f16 v26, v26, v27
	v_mad_co_u64_u32 v[4:5], null, s16, v12, 0
	v_lshlrev_b64_e32 v[6:7], 2, v[9:10]
	v_add_nc_u32_e32 v31, 0x360, v12
	v_add_co_u32 v2, vcc_lo, v19, v2
	v_add_nc_u32_e32 v32, 0x6c0, v12
	s_wait_alu 0xfffd
	v_add_co_ci_u32_e32 v3, vcc_lo, v20, v3, vcc_lo
	v_mad_co_u64_u32 v[8:9], null, s16, v31, 0
	v_mad_co_u64_u32 v[10:11], null, s17, v12, v[5:6]
	v_add_co_u32 v6, vcc_lo, v19, v6
	s_wait_alu 0xfffd
	v_add_co_ci_u32_e32 v7, vcc_lo, v20, v7, vcc_lo
	s_clause 0x1
	global_store_b32 v[0:1], v29, off
	global_store_b32 v[2:3], v28, off
	v_lshrrev_b32_e32 v3, 5, v22
	v_mov_b32_e32 v5, v10
	v_mad_co_u64_u32 v[9:10], null, s17, v31, v[9:10]
	v_mad_co_u64_u32 v[10:11], null, s16, v32, 0
	global_store_b32 v[6:7], v26, off
	v_mul_hi_u32 v7, 0x97b425f, v3
	v_lshlrev_b64_e32 v[0:1], 2, v[4:5]
	v_fma_f16 v23, v23, 2.0, -v40
	v_lshlrev_b64_e32 v[3:4], 2, v[8:9]
	v_fma_f16 v17, v49, 2.0, -v47
	v_mov_b32_e32 v2, v11
	v_fma_f16 v24, v24, 2.0, -v14
	v_add_co_u32 v0, vcc_lo, v19, v0
	s_wait_alu 0xfffd
	v_add_co_ci_u32_e32 v1, vcc_lo, v20, v1, vcc_lo
	v_mad_co_u64_u32 v[5:6], null, s17, v32, v[2:3]
	v_mul_u32_u24_e32 v6, 0x360, v7
	v_pack_b32_f16 v8, v18, v23
	v_add_co_u32 v2, vcc_lo, v19, v3
	s_wait_alu 0xfffd
	v_add_co_ci_u32_e32 v3, vcc_lo, v20, v4, vcc_lo
	v_sub_nc_u32_e32 v6, v22, v6
	global_store_b32 v[0:1], v8, off
	v_add_nc_u32_e32 v8, 0xa20, v12
	v_pack_b32_f16 v4, v16, v17
	v_mov_b32_e32 v11, v5
	v_mad_u32_u24 v12, 0xd80, v7, v6
	v_pack_b32_f16 v17, v21, v40
	v_fma_f16 v45, v73, 2.0, -v30
	global_store_b32 v[2:3], v4, off
	v_mad_co_u64_u32 v[2:3], null, s16, v8, 0
	v_add_nc_u32_e32 v16, 0x360, v12
	v_mad_co_u64_u32 v[4:5], null, s16, v12, 0
	v_lshlrev_b64_e32 v[0:1], 2, v[10:11]
	v_add_nc_u32_e32 v18, 0x6c0, v12
	s_delay_alu instid0(VALU_DEP_4) | instskip(NEXT) | instid1(VALU_DEP_4)
	v_mad_co_u64_u32 v[6:7], null, s16, v16, 0
	v_mad_co_u64_u32 v[8:9], null, s17, v8, v[3:4]
	s_delay_alu instid0(VALU_DEP_4) | instskip(NEXT) | instid1(VALU_DEP_3)
	v_add_co_u32 v0, vcc_lo, v19, v0
	v_mad_co_u64_u32 v[9:10], null, s17, v12, v[5:6]
	s_delay_alu instid0(VALU_DEP_4)
	v_dual_mov_b32 v5, v7 :: v_dual_add_nc_u32 v12, 0xa20, v12
	v_mad_co_u64_u32 v[10:11], null, s16, v18, 0
	s_wait_alu 0xfffd
	v_add_co_ci_u32_e32 v1, vcc_lo, v20, v1, vcc_lo
	v_mov_b32_e32 v3, v8
	v_mad_co_u64_u32 v[7:8], null, s17, v16, v[5:6]
	v_mov_b32_e32 v5, v9
	v_mad_co_u64_u32 v[8:9], null, s16, v12, 0
	global_store_b32 v[0:1], v17, off
	v_lshlrev_b64_e32 v[0:1], 2, v[2:3]
	v_mov_b32_e32 v2, v11
	v_lshlrev_b64_e32 v[4:5], 2, v[4:5]
	v_pack_b32_f16 v16, v13, v47
	v_lshlrev_b64_e32 v[6:7], 2, v[6:7]
	s_delay_alu instid0(VALU_DEP_4) | instskip(SKIP_4) | instid1(VALU_DEP_3)
	v_mad_co_u64_u32 v[2:3], null, s17, v18, v[2:3]
	v_mov_b32_e32 v3, v9
	v_add_co_u32 v0, vcc_lo, v19, v0
	s_wait_alu 0xfffd
	v_add_co_ci_u32_e32 v1, vcc_lo, v20, v1, vcc_lo
	v_mad_co_u64_u32 v[12:13], null, s17, v12, v[3:4]
	v_mov_b32_e32 v11, v2
	v_add_co_u32 v2, vcc_lo, v19, v4
	s_wait_alu 0xfffd
	v_add_co_ci_u32_e32 v3, vcc_lo, v20, v5, vcc_lo
	s_delay_alu instid0(VALU_DEP_3) | instskip(SKIP_4) | instid1(VALU_DEP_3)
	v_lshlrev_b64_e32 v[4:5], 2, v[10:11]
	v_mov_b32_e32 v9, v12
	v_add_co_u32 v6, vcc_lo, v19, v6
	s_wait_alu 0xfffd
	v_add_co_ci_u32_e32 v7, vcc_lo, v20, v7, vcc_lo
	v_lshlrev_b64_e32 v[8:9], 2, v[8:9]
	v_add_co_u32 v4, vcc_lo, v19, v4
	v_pack_b32_f16 v13, v15, v24
	s_wait_alu 0xfffd
	v_add_co_ci_u32_e32 v5, vcc_lo, v20, v5, vcc_lo
	v_pack_b32_f16 v10, v39, v45
	v_add_co_u32 v8, vcc_lo, v19, v8
	v_pack_b32_f16 v11, v48, v14
	s_wait_alu 0xfffd
	v_add_co_ci_u32_e32 v9, vcc_lo, v20, v9, vcc_lo
	v_pack_b32_f16 v12, v25, v30
	s_clause 0x4
	global_store_b32 v[0:1], v16, off
	global_store_b32 v[2:3], v13, off
	;; [unrolled: 1-line block ×5, first 2 shown]
.LBB0_15:
	s_nop 0
	s_sendmsg sendmsg(MSG_DEALLOC_VGPRS)
	s_endpgm
	.section	.rodata,"a",@progbits
	.p2align	6, 0x0
	.amdhsa_kernel fft_rtc_fwd_len3456_factors_6_6_6_4_4_wgs_144_tpt_144_halfLds_half_op_CI_CI_sbrr_dirReg
		.amdhsa_group_segment_fixed_size 0
		.amdhsa_private_segment_fixed_size 0
		.amdhsa_kernarg_size 104
		.amdhsa_user_sgpr_count 2
		.amdhsa_user_sgpr_dispatch_ptr 0
		.amdhsa_user_sgpr_queue_ptr 0
		.amdhsa_user_sgpr_kernarg_segment_ptr 1
		.amdhsa_user_sgpr_dispatch_id 0
		.amdhsa_user_sgpr_private_segment_size 0
		.amdhsa_wavefront_size32 1
		.amdhsa_uses_dynamic_stack 0
		.amdhsa_enable_private_segment 0
		.amdhsa_system_sgpr_workgroup_id_x 1
		.amdhsa_system_sgpr_workgroup_id_y 0
		.amdhsa_system_sgpr_workgroup_id_z 0
		.amdhsa_system_sgpr_workgroup_info 0
		.amdhsa_system_vgpr_workitem_id 0
		.amdhsa_next_free_vgpr 101
		.amdhsa_next_free_sgpr 43
		.amdhsa_reserve_vcc 1
		.amdhsa_float_round_mode_32 0
		.amdhsa_float_round_mode_16_64 0
		.amdhsa_float_denorm_mode_32 3
		.amdhsa_float_denorm_mode_16_64 3
		.amdhsa_fp16_overflow 0
		.amdhsa_workgroup_processor_mode 1
		.amdhsa_memory_ordered 1
		.amdhsa_forward_progress 0
		.amdhsa_round_robin_scheduling 0
		.amdhsa_exception_fp_ieee_invalid_op 0
		.amdhsa_exception_fp_denorm_src 0
		.amdhsa_exception_fp_ieee_div_zero 0
		.amdhsa_exception_fp_ieee_overflow 0
		.amdhsa_exception_fp_ieee_underflow 0
		.amdhsa_exception_fp_ieee_inexact 0
		.amdhsa_exception_int_div_zero 0
	.end_amdhsa_kernel
	.text
.Lfunc_end0:
	.size	fft_rtc_fwd_len3456_factors_6_6_6_4_4_wgs_144_tpt_144_halfLds_half_op_CI_CI_sbrr_dirReg, .Lfunc_end0-fft_rtc_fwd_len3456_factors_6_6_6_4_4_wgs_144_tpt_144_halfLds_half_op_CI_CI_sbrr_dirReg
                                        ; -- End function
	.section	.AMDGPU.csdata,"",@progbits
; Kernel info:
; codeLenInByte = 16776
; NumSgprs: 45
; NumVgprs: 101
; ScratchSize: 0
; MemoryBound: 0
; FloatMode: 240
; IeeeMode: 1
; LDSByteSize: 0 bytes/workgroup (compile time only)
; SGPRBlocks: 5
; VGPRBlocks: 12
; NumSGPRsForWavesPerEU: 45
; NumVGPRsForWavesPerEU: 101
; Occupancy: 12
; WaveLimiterHint : 1
; COMPUTE_PGM_RSRC2:SCRATCH_EN: 0
; COMPUTE_PGM_RSRC2:USER_SGPR: 2
; COMPUTE_PGM_RSRC2:TRAP_HANDLER: 0
; COMPUTE_PGM_RSRC2:TGID_X_EN: 1
; COMPUTE_PGM_RSRC2:TGID_Y_EN: 0
; COMPUTE_PGM_RSRC2:TGID_Z_EN: 0
; COMPUTE_PGM_RSRC2:TIDIG_COMP_CNT: 0
	.text
	.p2alignl 7, 3214868480
	.fill 96, 4, 3214868480
	.type	__hip_cuid_70373e74eaa65e47,@object ; @__hip_cuid_70373e74eaa65e47
	.section	.bss,"aw",@nobits
	.globl	__hip_cuid_70373e74eaa65e47
__hip_cuid_70373e74eaa65e47:
	.byte	0                               ; 0x0
	.size	__hip_cuid_70373e74eaa65e47, 1

	.ident	"AMD clang version 19.0.0git (https://github.com/RadeonOpenCompute/llvm-project roc-6.4.0 25133 c7fe45cf4b819c5991fe208aaa96edf142730f1d)"
	.section	".note.GNU-stack","",@progbits
	.addrsig
	.addrsig_sym __hip_cuid_70373e74eaa65e47
	.amdgpu_metadata
---
amdhsa.kernels:
  - .args:
      - .actual_access:  read_only
        .address_space:  global
        .offset:         0
        .size:           8
        .value_kind:     global_buffer
      - .offset:         8
        .size:           8
        .value_kind:     by_value
      - .actual_access:  read_only
        .address_space:  global
        .offset:         16
        .size:           8
        .value_kind:     global_buffer
      - .actual_access:  read_only
        .address_space:  global
        .offset:         24
        .size:           8
        .value_kind:     global_buffer
      - .actual_access:  read_only
        .address_space:  global
        .offset:         32
        .size:           8
        .value_kind:     global_buffer
      - .offset:         40
        .size:           8
        .value_kind:     by_value
      - .actual_access:  read_only
        .address_space:  global
        .offset:         48
        .size:           8
        .value_kind:     global_buffer
      - .actual_access:  read_only
        .address_space:  global
        .offset:         56
        .size:           8
        .value_kind:     global_buffer
      - .offset:         64
        .size:           4
        .value_kind:     by_value
      - .actual_access:  read_only
        .address_space:  global
        .offset:         72
        .size:           8
        .value_kind:     global_buffer
      - .actual_access:  read_only
        .address_space:  global
        .offset:         80
        .size:           8
        .value_kind:     global_buffer
      - .actual_access:  read_only
        .address_space:  global
        .offset:         88
        .size:           8
        .value_kind:     global_buffer
      - .actual_access:  write_only
        .address_space:  global
        .offset:         96
        .size:           8
        .value_kind:     global_buffer
    .group_segment_fixed_size: 0
    .kernarg_segment_align: 8
    .kernarg_segment_size: 104
    .language:       OpenCL C
    .language_version:
      - 2
      - 0
    .max_flat_workgroup_size: 144
    .name:           fft_rtc_fwd_len3456_factors_6_6_6_4_4_wgs_144_tpt_144_halfLds_half_op_CI_CI_sbrr_dirReg
    .private_segment_fixed_size: 0
    .sgpr_count:     45
    .sgpr_spill_count: 0
    .symbol:         fft_rtc_fwd_len3456_factors_6_6_6_4_4_wgs_144_tpt_144_halfLds_half_op_CI_CI_sbrr_dirReg.kd
    .uniform_work_group_size: 1
    .uses_dynamic_stack: false
    .vgpr_count:     101
    .vgpr_spill_count: 0
    .wavefront_size: 32
    .workgroup_processor_mode: 1
amdhsa.target:   amdgcn-amd-amdhsa--gfx1201
amdhsa.version:
  - 1
  - 2
...

	.end_amdgpu_metadata
